;; amdgpu-corpus repo=ROCm/rocFFT kind=compiled arch=gfx1100 opt=O3
	.text
	.amdgcn_target "amdgcn-amd-amdhsa--gfx1100"
	.amdhsa_code_object_version 6
	.protected	fft_rtc_fwd_len1200_factors_5_5_16_3_wgs_225_tpt_75_halfLds_dp_op_CI_CI_unitstride_sbrr_R2C_dirReg ; -- Begin function fft_rtc_fwd_len1200_factors_5_5_16_3_wgs_225_tpt_75_halfLds_dp_op_CI_CI_unitstride_sbrr_R2C_dirReg
	.globl	fft_rtc_fwd_len1200_factors_5_5_16_3_wgs_225_tpt_75_halfLds_dp_op_CI_CI_unitstride_sbrr_R2C_dirReg
	.p2align	8
	.type	fft_rtc_fwd_len1200_factors_5_5_16_3_wgs_225_tpt_75_halfLds_dp_op_CI_CI_unitstride_sbrr_R2C_dirReg,@function
fft_rtc_fwd_len1200_factors_5_5_16_3_wgs_225_tpt_75_halfLds_dp_op_CI_CI_unitstride_sbrr_R2C_dirReg: ; @fft_rtc_fwd_len1200_factors_5_5_16_3_wgs_225_tpt_75_halfLds_dp_op_CI_CI_unitstride_sbrr_R2C_dirReg
; %bb.0:
	s_load_b128 s[8:11], s[0:1], 0x0
	v_mul_u32_u24_e32 v1, 0x36a, v0
	s_clause 0x1
	s_load_b128 s[4:7], s[0:1], 0x58
	s_load_b128 s[16:19], s[0:1], 0x18
	v_mov_b32_e32 v5, 0
	v_lshrrev_b32_e32 v6, 16, v1
	v_mov_b32_e32 v1, 0
	v_mov_b32_e32 v2, 0
	s_delay_alu instid0(VALU_DEP_3) | instskip(NEXT) | instid1(VALU_DEP_2)
	v_mad_u64_u32 v[3:4], null, s15, 3, v[6:7]
	v_dual_mov_b32 v4, v5 :: v_dual_mov_b32 v97, v2
	s_delay_alu instid0(VALU_DEP_1) | instskip(NEXT) | instid1(VALU_DEP_3)
	v_dual_mov_b32 v96, v1 :: v_dual_mov_b32 v101, v4
	v_mov_b32_e32 v100, v3
	s_waitcnt lgkmcnt(0)
	v_cmp_lt_u64_e64 s2, s[10:11], 2
	s_delay_alu instid0(VALU_DEP_1)
	s_and_b32 vcc_lo, exec_lo, s2
	s_cbranch_vccnz .LBB0_8
; %bb.1:
	s_load_b64 s[2:3], s[0:1], 0x10
	v_dual_mov_b32 v1, 0 :: v_dual_mov_b32 v8, v4
	v_dual_mov_b32 v2, 0 :: v_dual_mov_b32 v7, v3
	s_add_u32 s12, s18, 8
	s_addc_u32 s13, s19, 0
	s_add_u32 s14, s16, 8
	s_delay_alu instid0(VALU_DEP_1)
	v_dual_mov_b32 v97, v2 :: v_dual_mov_b32 v96, v1
	s_addc_u32 s15, s17, 0
	s_mov_b64 s[22:23], 1
	s_waitcnt lgkmcnt(0)
	s_add_u32 s20, s2, 8
	s_addc_u32 s21, s3, 0
.LBB0_2:                                ; =>This Inner Loop Header: Depth=1
	s_load_b64 s[24:25], s[20:21], 0x0
                                        ; implicit-def: $vgpr100_vgpr101
	s_mov_b32 s2, exec_lo
	s_waitcnt lgkmcnt(0)
	v_or_b32_e32 v6, s25, v8
	s_delay_alu instid0(VALU_DEP_1)
	v_cmpx_ne_u64_e32 0, v[5:6]
	s_xor_b32 s3, exec_lo, s2
	s_cbranch_execz .LBB0_4
; %bb.3:                                ;   in Loop: Header=BB0_2 Depth=1
	v_cvt_f32_u32_e32 v4, s24
	v_cvt_f32_u32_e32 v6, s25
	s_sub_u32 s2, 0, s24
	s_subb_u32 s26, 0, s25
	s_delay_alu instid0(VALU_DEP_1) | instskip(NEXT) | instid1(VALU_DEP_1)
	v_fmac_f32_e32 v4, 0x4f800000, v6
	v_rcp_f32_e32 v4, v4
	s_waitcnt_depctr 0xfff
	v_mul_f32_e32 v4, 0x5f7ffffc, v4
	s_delay_alu instid0(VALU_DEP_1) | instskip(NEXT) | instid1(VALU_DEP_1)
	v_mul_f32_e32 v6, 0x2f800000, v4
	v_trunc_f32_e32 v6, v6
	s_delay_alu instid0(VALU_DEP_1) | instskip(SKIP_1) | instid1(VALU_DEP_2)
	v_fmac_f32_e32 v4, 0xcf800000, v6
	v_cvt_u32_f32_e32 v6, v6
	v_cvt_u32_f32_e32 v4, v4
	s_delay_alu instid0(VALU_DEP_2) | instskip(NEXT) | instid1(VALU_DEP_2)
	v_mul_lo_u32 v9, s2, v6
	v_mul_hi_u32 v10, s2, v4
	v_mul_lo_u32 v11, s26, v4
	s_delay_alu instid0(VALU_DEP_2) | instskip(SKIP_1) | instid1(VALU_DEP_2)
	v_add_nc_u32_e32 v9, v10, v9
	v_mul_lo_u32 v10, s2, v4
	v_add_nc_u32_e32 v9, v9, v11
	s_delay_alu instid0(VALU_DEP_2) | instskip(NEXT) | instid1(VALU_DEP_2)
	v_mul_hi_u32 v11, v4, v10
	v_mul_lo_u32 v12, v4, v9
	v_mul_hi_u32 v13, v4, v9
	v_mul_hi_u32 v14, v6, v10
	v_mul_lo_u32 v10, v6, v10
	v_mul_hi_u32 v15, v6, v9
	v_mul_lo_u32 v9, v6, v9
	v_add_co_u32 v11, vcc_lo, v11, v12
	v_add_co_ci_u32_e32 v12, vcc_lo, 0, v13, vcc_lo
	s_delay_alu instid0(VALU_DEP_2) | instskip(NEXT) | instid1(VALU_DEP_2)
	v_add_co_u32 v10, vcc_lo, v11, v10
	v_add_co_ci_u32_e32 v10, vcc_lo, v12, v14, vcc_lo
	v_add_co_ci_u32_e32 v11, vcc_lo, 0, v15, vcc_lo
	s_delay_alu instid0(VALU_DEP_2) | instskip(NEXT) | instid1(VALU_DEP_2)
	v_add_co_u32 v9, vcc_lo, v10, v9
	v_add_co_ci_u32_e32 v10, vcc_lo, 0, v11, vcc_lo
	s_delay_alu instid0(VALU_DEP_2) | instskip(NEXT) | instid1(VALU_DEP_2)
	v_add_co_u32 v4, vcc_lo, v4, v9
	v_add_co_ci_u32_e32 v6, vcc_lo, v6, v10, vcc_lo
	s_delay_alu instid0(VALU_DEP_2) | instskip(SKIP_1) | instid1(VALU_DEP_3)
	v_mul_hi_u32 v9, s2, v4
	v_mul_lo_u32 v11, s26, v4
	v_mul_lo_u32 v10, s2, v6
	s_delay_alu instid0(VALU_DEP_1) | instskip(SKIP_1) | instid1(VALU_DEP_2)
	v_add_nc_u32_e32 v9, v9, v10
	v_mul_lo_u32 v10, s2, v4
	v_add_nc_u32_e32 v9, v9, v11
	s_delay_alu instid0(VALU_DEP_2) | instskip(NEXT) | instid1(VALU_DEP_2)
	v_mul_hi_u32 v11, v4, v10
	v_mul_lo_u32 v12, v4, v9
	v_mul_hi_u32 v13, v4, v9
	v_mul_hi_u32 v14, v6, v10
	v_mul_lo_u32 v10, v6, v10
	v_mul_hi_u32 v15, v6, v9
	v_mul_lo_u32 v9, v6, v9
	v_add_co_u32 v11, vcc_lo, v11, v12
	v_add_co_ci_u32_e32 v12, vcc_lo, 0, v13, vcc_lo
	s_delay_alu instid0(VALU_DEP_2) | instskip(NEXT) | instid1(VALU_DEP_2)
	v_add_co_u32 v10, vcc_lo, v11, v10
	v_add_co_ci_u32_e32 v10, vcc_lo, v12, v14, vcc_lo
	v_add_co_ci_u32_e32 v11, vcc_lo, 0, v15, vcc_lo
	s_delay_alu instid0(VALU_DEP_2) | instskip(NEXT) | instid1(VALU_DEP_2)
	v_add_co_u32 v9, vcc_lo, v10, v9
	v_add_co_ci_u32_e32 v10, vcc_lo, 0, v11, vcc_lo
	s_delay_alu instid0(VALU_DEP_2) | instskip(NEXT) | instid1(VALU_DEP_2)
	v_add_co_u32 v4, vcc_lo, v4, v9
	v_add_co_ci_u32_e32 v6, vcc_lo, v6, v10, vcc_lo
	s_delay_alu instid0(VALU_DEP_2) | instskip(SKIP_1) | instid1(VALU_DEP_3)
	v_mul_hi_u32 v15, v7, v4
	v_mad_u64_u32 v[11:12], null, v8, v4, 0
	v_mad_u64_u32 v[9:10], null, v7, v6, 0
	;; [unrolled: 1-line block ×3, first 2 shown]
	s_delay_alu instid0(VALU_DEP_2) | instskip(NEXT) | instid1(VALU_DEP_3)
	v_add_co_u32 v4, vcc_lo, v15, v9
	v_add_co_ci_u32_e32 v6, vcc_lo, 0, v10, vcc_lo
	s_delay_alu instid0(VALU_DEP_2) | instskip(NEXT) | instid1(VALU_DEP_2)
	v_add_co_u32 v4, vcc_lo, v4, v11
	v_add_co_ci_u32_e32 v4, vcc_lo, v6, v12, vcc_lo
	v_add_co_ci_u32_e32 v6, vcc_lo, 0, v14, vcc_lo
	s_delay_alu instid0(VALU_DEP_2) | instskip(NEXT) | instid1(VALU_DEP_2)
	v_add_co_u32 v4, vcc_lo, v4, v13
	v_add_co_ci_u32_e32 v6, vcc_lo, 0, v6, vcc_lo
	s_delay_alu instid0(VALU_DEP_2) | instskip(SKIP_1) | instid1(VALU_DEP_3)
	v_mul_lo_u32 v11, s25, v4
	v_mad_u64_u32 v[9:10], null, s24, v4, 0
	v_mul_lo_u32 v12, s24, v6
	s_delay_alu instid0(VALU_DEP_2) | instskip(NEXT) | instid1(VALU_DEP_2)
	v_sub_co_u32 v9, vcc_lo, v7, v9
	v_add3_u32 v10, v10, v12, v11
	s_delay_alu instid0(VALU_DEP_1) | instskip(NEXT) | instid1(VALU_DEP_1)
	v_sub_nc_u32_e32 v11, v8, v10
	v_subrev_co_ci_u32_e64 v11, s2, s25, v11, vcc_lo
	v_add_co_u32 v12, s2, v4, 2
	s_delay_alu instid0(VALU_DEP_1) | instskip(SKIP_3) | instid1(VALU_DEP_3)
	v_add_co_ci_u32_e64 v13, s2, 0, v6, s2
	v_sub_co_u32 v14, s2, v9, s24
	v_sub_co_ci_u32_e32 v10, vcc_lo, v8, v10, vcc_lo
	v_subrev_co_ci_u32_e64 v11, s2, 0, v11, s2
	v_cmp_le_u32_e32 vcc_lo, s24, v14
	s_delay_alu instid0(VALU_DEP_3) | instskip(SKIP_1) | instid1(VALU_DEP_4)
	v_cmp_eq_u32_e64 s2, s25, v10
	v_cndmask_b32_e64 v14, 0, -1, vcc_lo
	v_cmp_le_u32_e32 vcc_lo, s25, v11
	v_cndmask_b32_e64 v15, 0, -1, vcc_lo
	v_cmp_le_u32_e32 vcc_lo, s24, v9
	;; [unrolled: 2-line block ×3, first 2 shown]
	v_cndmask_b32_e64 v16, 0, -1, vcc_lo
	v_cmp_eq_u32_e32 vcc_lo, s25, v11
	s_delay_alu instid0(VALU_DEP_2) | instskip(SKIP_3) | instid1(VALU_DEP_3)
	v_cndmask_b32_e64 v9, v16, v9, s2
	v_cndmask_b32_e32 v11, v15, v14, vcc_lo
	v_add_co_u32 v14, vcc_lo, v4, 1
	v_add_co_ci_u32_e32 v15, vcc_lo, 0, v6, vcc_lo
	v_cmp_ne_u32_e32 vcc_lo, 0, v11
	s_delay_alu instid0(VALU_DEP_2) | instskip(SKIP_1) | instid1(VALU_DEP_2)
	v_dual_cndmask_b32 v10, v15, v13 :: v_dual_cndmask_b32 v11, v14, v12
	v_cmp_ne_u32_e32 vcc_lo, 0, v9
	v_dual_cndmask_b32 v101, v6, v10 :: v_dual_cndmask_b32 v100, v4, v11
.LBB0_4:                                ;   in Loop: Header=BB0_2 Depth=1
	s_and_not1_saveexec_b32 s2, s3
	s_cbranch_execz .LBB0_6
; %bb.5:                                ;   in Loop: Header=BB0_2 Depth=1
	v_cvt_f32_u32_e32 v4, s24
	s_sub_i32 s3, 0, s24
	v_mov_b32_e32 v101, v5
	s_delay_alu instid0(VALU_DEP_2) | instskip(SKIP_2) | instid1(VALU_DEP_1)
	v_rcp_iflag_f32_e32 v4, v4
	s_waitcnt_depctr 0xfff
	v_mul_f32_e32 v4, 0x4f7ffffe, v4
	v_cvt_u32_f32_e32 v4, v4
	s_delay_alu instid0(VALU_DEP_1) | instskip(NEXT) | instid1(VALU_DEP_1)
	v_mul_lo_u32 v6, s3, v4
	v_mul_hi_u32 v6, v4, v6
	s_delay_alu instid0(VALU_DEP_1) | instskip(NEXT) | instid1(VALU_DEP_1)
	v_add_nc_u32_e32 v4, v4, v6
	v_mul_hi_u32 v4, v7, v4
	s_delay_alu instid0(VALU_DEP_1) | instskip(NEXT) | instid1(VALU_DEP_1)
	v_mul_lo_u32 v6, v4, s24
	v_sub_nc_u32_e32 v6, v7, v6
	s_delay_alu instid0(VALU_DEP_1) | instskip(SKIP_1) | instid1(VALU_DEP_2)
	v_subrev_nc_u32_e32 v10, s24, v6
	v_cmp_le_u32_e32 vcc_lo, s24, v6
	v_dual_cndmask_b32 v6, v6, v10 :: v_dual_add_nc_u32 v9, 1, v4
	s_delay_alu instid0(VALU_DEP_1) | instskip(NEXT) | instid1(VALU_DEP_2)
	v_cndmask_b32_e32 v4, v4, v9, vcc_lo
	v_cmp_le_u32_e32 vcc_lo, s24, v6
	s_delay_alu instid0(VALU_DEP_2) | instskip(NEXT) | instid1(VALU_DEP_1)
	v_add_nc_u32_e32 v9, 1, v4
	v_cndmask_b32_e32 v100, v4, v9, vcc_lo
.LBB0_6:                                ;   in Loop: Header=BB0_2 Depth=1
	s_or_b32 exec_lo, exec_lo, s2
	s_delay_alu instid0(VALU_DEP_1) | instskip(NEXT) | instid1(VALU_DEP_2)
	v_mul_lo_u32 v4, v101, s24
	v_mul_lo_u32 v6, v100, s25
	s_load_b64 s[2:3], s[14:15], 0x0
	v_mad_u64_u32 v[9:10], null, v100, s24, 0
	s_load_b64 s[24:25], s[12:13], 0x0
	s_add_u32 s22, s22, 1
	s_addc_u32 s23, s23, 0
	s_add_u32 s12, s12, 8
	s_addc_u32 s13, s13, 0
	s_add_u32 s14, s14, 8
	s_delay_alu instid0(VALU_DEP_1) | instskip(SKIP_3) | instid1(VALU_DEP_2)
	v_add3_u32 v4, v10, v6, v4
	v_sub_co_u32 v10, vcc_lo, v7, v9
	s_addc_u32 s15, s15, 0
	s_add_u32 s20, s20, 8
	v_sub_co_ci_u32_e32 v4, vcc_lo, v8, v4, vcc_lo
	s_addc_u32 s21, s21, 0
	s_waitcnt lgkmcnt(0)
	s_delay_alu instid0(VALU_DEP_1)
	v_mul_lo_u32 v11, s2, v4
	v_mul_lo_u32 v12, s3, v10
	v_mad_u64_u32 v[6:7], null, s2, v10, v[1:2]
	v_mul_lo_u32 v4, s24, v4
	v_mul_lo_u32 v13, s25, v10
	v_mad_u64_u32 v[8:9], null, s24, v10, v[96:97]
	v_cmp_ge_u64_e64 s2, s[22:23], s[10:11]
	v_add3_u32 v2, v12, v7, v11
	s_delay_alu instid0(VALU_DEP_3) | instskip(NEXT) | instid1(VALU_DEP_4)
	v_dual_mov_b32 v1, v6 :: v_dual_mov_b32 v96, v8
	v_add3_u32 v97, v13, v9, v4
	s_delay_alu instid0(VALU_DEP_4)
	s_and_b32 vcc_lo, exec_lo, s2
	s_cbranch_vccnz .LBB0_8
; %bb.7:                                ;   in Loop: Header=BB0_2 Depth=1
	v_dual_mov_b32 v7, v100 :: v_dual_mov_b32 v8, v101
	s_branch .LBB0_2
.LBB0_8:
	s_load_b64 s[0:1], s[0:1], 0x28
	v_mul_hi_u32 v4, 0xaaaaaaab, v3
	s_lshl_b64 s[10:11], s[10:11], 3
                                        ; implicit-def: $vgpr98
                                        ; implicit-def: $vgpr102
                                        ; implicit-def: $vgpr106
                                        ; implicit-def: $vgpr104
	s_delay_alu instid0(SALU_CYCLE_1) | instskip(SKIP_1) | instid1(VALU_DEP_1)
	s_add_u32 s2, s18, s10
	s_addc_u32 s3, s19, s11
	v_lshrrev_b32_e32 v4, 1, v4
	s_delay_alu instid0(VALU_DEP_1) | instskip(SKIP_1) | instid1(VALU_DEP_2)
	v_lshl_add_u32 v5, v4, 1, v4
	v_mul_hi_u32 v4, 0x369d037, v0
	v_sub_nc_u32_e32 v3, v3, v5
	s_waitcnt lgkmcnt(0)
	v_cmp_gt_u64_e32 vcc_lo, s[0:1], v[100:101]
	v_cmp_le_u64_e64 s0, s[0:1], v[100:101]
	s_delay_alu instid0(VALU_DEP_1) | instskip(NEXT) | instid1(SALU_CYCLE_1)
	s_and_saveexec_b32 s1, s0
	s_xor_b32 s0, exec_lo, s1
; %bb.9:
	s_delay_alu instid0(VALU_DEP_4) | instskip(NEXT) | instid1(VALU_DEP_1)
	v_mul_u32_u24_e32 v1, 0x4b, v4
                                        ; implicit-def: $vgpr4
	v_sub_nc_u32_e32 v98, v0, v1
                                        ; implicit-def: $vgpr0
                                        ; implicit-def: $vgpr1_vgpr2
	s_delay_alu instid0(VALU_DEP_1)
	v_add_nc_u32_e32 v102, 0x4b, v98
	v_add_nc_u32_e32 v106, 0x96, v98
	;; [unrolled: 1-line block ×3, first 2 shown]
; %bb.10:
	s_or_saveexec_b32 s1, s0
	v_mul_u32_u24_e32 v105, 0x4b1, v3
	s_delay_alu instid0(VALU_DEP_1)
	v_lshlrev_b32_e32 v112, 4, v105
	s_xor_b32 exec_lo, exec_lo, s1
	s_cbranch_execz .LBB0_12
; %bb.11:
	s_add_u32 s10, s16, s10
	s_addc_u32 s11, s17, s11
	v_lshlrev_b64 v[1:2], 4, v[1:2]
	s_load_b64 s[10:11], s[10:11], 0x0
	s_waitcnt lgkmcnt(0)
	v_mul_lo_u32 v3, s11, v100
	v_mul_lo_u32 v7, s10, v101
	v_mad_u64_u32 v[5:6], null, s10, v100, 0
	s_delay_alu instid0(VALU_DEP_1) | instskip(SKIP_1) | instid1(VALU_DEP_2)
	v_add3_u32 v6, v6, v7, v3
	v_mul_u32_u24_e32 v7, 0x4b, v4
	v_lshlrev_b64 v[3:4], 4, v[5:6]
	s_delay_alu instid0(VALU_DEP_2) | instskip(NEXT) | instid1(VALU_DEP_1)
	v_sub_nc_u32_e32 v98, v0, v7
	v_lshlrev_b32_e32 v64, 4, v98
	s_delay_alu instid0(VALU_DEP_3) | instskip(NEXT) | instid1(VALU_DEP_1)
	v_add_co_u32 v0, s0, s4, v3
	v_add_co_ci_u32_e64 v3, s0, s5, v4, s0
	v_add_nc_u32_e32 v102, 0x4b, v98
	s_delay_alu instid0(VALU_DEP_3) | instskip(NEXT) | instid1(VALU_DEP_1)
	v_add_co_u32 v0, s0, v0, v1
	v_add_co_ci_u32_e64 v1, s0, v3, v2, s0
	v_add_nc_u32_e32 v106, 0x96, v98
	s_delay_alu instid0(VALU_DEP_3) | instskip(NEXT) | instid1(VALU_DEP_1)
	v_add_co_u32 v16, s0, v0, v64
	v_add_co_ci_u32_e64 v17, s0, 0, v1, s0
	s_clause 0x3
	global_load_b128 v[0:3], v[16:17], off
	global_load_b128 v[4:7], v[16:17], off offset:1200
	global_load_b128 v[8:11], v[16:17], off offset:2400
	global_load_b128 v[12:15], v[16:17], off offset:3600
	v_add_co_u32 v24, s0, 0x1000, v16
	s_delay_alu instid0(VALU_DEP_1) | instskip(SKIP_1) | instid1(VALU_DEP_1)
	v_add_co_ci_u32_e64 v25, s0, 0, v17, s0
	v_add_co_u32 v40, s0, 0x2000, v16
	v_add_co_ci_u32_e64 v41, s0, 0, v17, s0
	v_add_co_u32 v52, s0, 0x3000, v16
	s_delay_alu instid0(VALU_DEP_1) | instskip(SKIP_1) | instid1(VALU_DEP_1)
	v_add_co_ci_u32_e64 v53, s0, 0, v17, s0
	v_add_co_u32 v60, s0, 0x4000, v16
	v_add_co_ci_u32_e64 v61, s0, 0, v17, s0
	s_clause 0xb
	global_load_b128 v[16:19], v[24:25], off offset:704
	global_load_b128 v[20:23], v[24:25], off offset:1904
	;; [unrolled: 1-line block ×12, first 2 shown]
	v_add3_u32 v64, 0, v112, v64
	v_add_nc_u32_e32 v104, 0xe1, v98
	s_waitcnt vmcnt(15)
	ds_store_b128 v64, v[0:3]
	s_waitcnt vmcnt(14)
	ds_store_b128 v64, v[4:7] offset:1200
	s_waitcnt vmcnt(13)
	ds_store_b128 v64, v[8:11] offset:2400
	;; [unrolled: 2-line block ×15, first 2 shown]
.LBB0_12:
	s_or_b32 exec_lo, exec_lo, s1
	v_lshlrev_b32_e32 v99, 4, v98
	v_add_nc_u32_e32 v109, 0, v112
	s_load_b64 s[2:3], s[2:3], 0x0
	s_waitcnt lgkmcnt(0)
	s_barrier
	v_add_nc_u32_e32 v111, 0, v99
	v_add_nc_u32_e32 v110, v109, v99
	buffer_gl0_inv
	s_mov_b32 s4, 0x134454ff
	s_mov_b32 s5, 0x3fee6f0e
	v_add_nc_u32_e32 v103, v111, v112
	s_mov_b32 s1, 0xbfee6f0e
	s_mov_b32 s0, s4
	;; [unrolled: 1-line block ×3, first 2 shown]
	ds_load_b128 v[0:3], v110
	ds_load_b128 v[4:7], v103 offset:1200
	ds_load_b128 v[12:15], v103 offset:3840
	;; [unrolled: 1-line block ×19, first 2 shown]
	s_mov_b32 s11, 0x3fe2cf23
	s_mov_b32 s13, 0xbfe2cf23
	;; [unrolled: 1-line block ×3, first 2 shown]
	s_waitcnt lgkmcnt(0)
	s_barrier
	buffer_gl0_inv
	v_add_f64 v[131:132], v[28:29], v[32:33]
	v_add_f64 v[135:136], v[30:31], -v[34:35]
	v_add_f64 v[141:142], v[30:31], v[34:35]
	v_add_f64 v[147:148], v[28:29], -v[32:33]
	v_add_f64 v[143:144], v[40:41], v[48:49]
	v_add_f64 v[145:146], v[42:43], v[50:51]
	;; [unrolled: 1-line block ×10, first 2 shown]
	v_add_f64 v[90:91], v[14:15], -v[26:27]
	v_add_f64 v[92:93], v[22:23], -v[18:19]
	v_add_f64 v[94:95], v[12:13], -v[20:21]
	v_add_f64 v[115:116], v[20:21], -v[12:13]
	v_add_f64 v[12:13], v[12:13], -v[24:25]
	v_add_f64 v[121:122], v[20:21], -v[16:17]
	v_add_f64 v[123:124], v[14:15], -v[22:23]
	v_add_f64 v[127:128], v[14:15], v[26:27]
	v_add_f64 v[14:15], v[22:23], -v[14:15]
	v_add_f64 v[133:134], v[10:11], -v[38:39]
	;; [unrolled: 1-line block ×5, first 2 shown]
	v_add_f64 v[153:154], v[46:47], v[54:55]
	v_add_f64 v[155:156], v[30:31], -v[10:11]
	v_add_f64 v[157:158], v[8:9], v[36:37]
	v_add_f64 v[10:11], v[10:11], v[38:39]
	;; [unrolled: 1-line block ×3, first 2 shown]
	v_add_f64 v[161:162], v[58:59], -v[66:67]
	v_add_f64 v[163:164], v[48:49], -v[56:57]
	;; [unrolled: 1-line block ×3, first 2 shown]
	v_add_f64 v[167:168], v[58:59], v[66:67]
	v_add_f64 v[169:170], v[56:57], -v[64:65]
	v_add_f64 v[171:172], v[50:51], -v[58:59]
	;; [unrolled: 1-line block ×4, first 2 shown]
	v_add_f64 v[50:51], v[50:51], v[74:75]
	v_add_f64 v[187:188], v[60:61], v[68:69]
	;; [unrolled: 1-line block ×8, first 2 shown]
	v_fma_f64 v[88:89], v[88:89], -0.5, v[0:1]
	v_add_f64 v[58:59], v[145:146], v[58:59]
	v_fma_f64 v[119:120], v[119:120], -0.5, v[2:3]
	v_add_f64 v[143:144], v[62:63], v[70:71]
	v_add_f64 v[145:146], v[54:55], v[78:79]
	;; [unrolled: 1-line block ×3, first 2 shown]
	v_fma_f64 v[0:1], v[113:114], -0.5, v[0:1]
	v_add_f64 v[107:108], v[24:25], -v[16:17]
	v_add_f64 v[177:178], v[48:49], v[72:73]
	v_add_f64 v[117:118], v[16:17], -v[24:25]
	v_add_f64 v[125:126], v[26:27], -v[18:19]
	;; [unrolled: 1-line block ×11, first 2 shown]
	v_add_f64 v[153:154], v[153:154], v[62:63]
	v_fma_f64 v[2:3], v[127:128], -0.5, v[2:3]
	v_add_f64 v[113:114], v[62:63], -v[70:71]
	v_add_f64 v[127:128], v[52:53], -v[60:61]
	;; [unrolled: 1-line block ×4, first 2 shown]
	v_fma_f64 v[159:160], v[159:160], -0.5, v[40:41]
	v_fma_f64 v[167:168], v[167:168], -0.5, v[42:43]
	v_add_f64 v[183:184], v[74:75], -v[66:67]
	v_add_f64 v[185:186], v[66:67], -v[74:75]
	v_fma_f64 v[42:43], v[50:51], -0.5, v[42:43]
	v_add_f64 v[56:57], v[56:57], v[64:65]
	v_add_f64 v[16:17], v[20:21], v[16:17]
	v_add_f64 v[18:19], v[22:23], v[18:19]
	v_add_f64 v[28:29], v[28:29], v[32:33]
	v_add_f64 v[30:31], v[30:31], v[34:35]
	v_add_f64 v[32:33], v[60:61], -v[68:69]
	v_add_f64 v[34:35], v[54:55], -v[62:63]
	;; [unrolled: 1-line block ×3, first 2 shown]
	v_fma_f64 v[62:63], v[131:132], -0.5, v[4:5]
	v_fma_f64 v[131:132], v[141:142], -0.5, v[6:7]
	v_add_f64 v[54:55], v[54:55], -v[78:79]
	v_add_f64 v[141:142], v[76:77], -v[68:69]
	v_fma_f64 v[4:5], v[157:158], -0.5, v[4:5]
	v_add_f64 v[157:158], v[68:69], -v[76:77]
	v_fma_f64 v[6:7], v[10:11], -0.5, v[6:7]
	v_fma_f64 v[193:194], v[12:13], s[0:1], v[119:120]
	v_fma_f64 v[50:51], v[12:13], s[4:5], v[119:120]
	v_fma_f64 v[119:120], v[187:188], -0.5, v[44:45]
	v_fma_f64 v[44:45], v[189:190], -0.5, v[44:45]
	;; [unrolled: 1-line block ×4, first 2 shown]
	v_add_f64 v[64:65], v[151:152], v[68:69]
	v_fma_f64 v[68:69], v[92:93], s[0:1], v[0:1]
	v_fma_f64 v[0:1], v[92:93], s[4:5], v[0:1]
	v_add_f64 v[94:95], v[94:95], v[107:108]
	v_fma_f64 v[107:108], v[90:91], s[4:5], v[88:89]
	v_fma_f64 v[88:89], v[90:91], s[0:1], v[88:89]
	v_fma_f64 v[40:41], v[177:178], -0.5, v[40:41]
	v_add_f64 v[10:11], v[78:79], -v[70:71]
	v_add_f64 v[123:124], v[123:124], v[125:126]
	v_add_f64 v[125:126], v[70:71], -v[78:79]
	v_add_f64 v[58:59], v[58:59], v[66:67]
	v_add_f64 v[66:67], v[153:154], v[70:71]
	v_fma_f64 v[70:71], v[121:122], s[4:5], v[2:3]
	v_fma_f64 v[2:3], v[121:122], s[0:1], v[2:3]
	;; [unrolled: 1-line block ×4, first 2 shown]
	v_add_f64 v[115:116], v[115:116], v[117:118]
	v_add_f64 v[14:15], v[14:15], v[129:130]
	;; [unrolled: 1-line block ×6, first 2 shown]
	v_fma_f64 v[145:146], v[48:49], s[0:1], v[167:168]
	v_add_f64 v[82:83], v[139:140], v[82:83]
	v_add_f64 v[86:87], v[155:156], v[86:87]
	v_fma_f64 v[16:17], v[133:134], s[4:5], v[62:63]
	v_fma_f64 v[18:19], v[8:9], s[0:1], v[131:132]
	;; [unrolled: 1-line block ×29, first 2 shown]
	v_add_f64 v[12:13], v[137:138], v[80:81]
	v_add_f64 v[80:81], v[149:150], v[84:85]
	v_fma_f64 v[149:150], v[161:162], s[12:13], v[151:152]
	v_fma_f64 v[151:152], v[169:170], s[10:11], v[153:154]
	v_add_f64 v[153:154], v[165:166], v[181:182]
	v_add_f64 v[127:128], v[127:128], v[141:142]
	;; [unrolled: 1-line block ×5, first 2 shown]
	v_fma_f64 v[16:17], v[135:136], s[10:11], v[16:17]
	v_fma_f64 v[18:19], v[147:148], s[12:13], v[18:19]
	;; [unrolled: 1-line block ×8, first 2 shown]
	v_add_f64 v[147:148], v[171:172], v[183:184]
	v_fma_f64 v[117:118], v[113:114], s[10:11], v[117:118]
	v_fma_f64 v[113:114], v[113:114], s[12:13], v[119:120]
	;; [unrolled: 1-line block ×4, first 2 shown]
	v_add_f64 v[143:144], v[191:192], v[157:158]
	v_fma_f64 v[157:158], v[54:55], s[10:11], v[159:160]
	v_fma_f64 v[131:132], v[161:162], s[10:11], v[131:132]
	;; [unrolled: 1-line block ×6, first 2 shown]
	v_add_f64 v[161:162], v[173:174], v[185:186]
	s_mov_b32 s0, 0x372fe950
	v_fma_f64 v[92:93], v[175:176], s[10:11], v[92:93]
	s_mov_b32 s1, 0x3fd3c6ef
	v_fma_f64 v[121:122], v[48:49], s[12:13], v[121:122]
	v_fma_f64 v[155:156], v[175:176], s[12:13], v[40:41]
	;; [unrolled: 1-line block ×5, first 2 shown]
	v_add_f64 v[28:29], v[56:57], v[72:73]
	v_add_f64 v[30:31], v[58:59], v[74:75]
	;; [unrolled: 1-line block ×4, first 2 shown]
	v_fma_f64 v[38:39], v[123:124], s[0:1], v[50:51]
	v_fma_f64 v[40:41], v[115:116], s[0:1], v[68:69]
	;; [unrolled: 1-line block ×26, first 2 shown]
	v_mad_u32_u24 v80, 0x50, v98, v109
	v_fma_f64 v[72:73], v[153:154], s[0:1], v[92:93]
	ds_store_b128 v80, v[20:23]
	ds_store_b128 v80, v[32:35] offset:16
	v_fma_f64 v[74:75], v[161:162], s[0:1], v[121:122]
	v_fma_f64 v[76:77], v[153:154], s[0:1], v[155:156]
	;; [unrolled: 1-line block ×3, first 2 shown]
	v_mad_i32_i24 v20, 0x50, v106, 0
	v_mad_i32_i24 v21, 0x50, v102, v109
	v_cmp_gt_u32_e64 s0, 15, v98
	ds_store_b128 v80, v[40:43] offset:32
	ds_store_b128 v80, v[44:47] offset:48
	;; [unrolled: 1-line block ×3, first 2 shown]
	ds_store_b128 v21, v[24:27]
	ds_store_b128 v21, v[48:51] offset:16
	v_add_nc_u32_e32 v22, v20, v112
	ds_store_b128 v21, v[56:59] offset:32
	ds_store_b128 v21, v[60:63] offset:48
	;; [unrolled: 1-line block ×3, first 2 shown]
	ds_store_b128 v22, v[28:31]
	ds_store_b128 v22, v[64:67] offset:16
	ds_store_b128 v22, v[72:75] offset:32
	;; [unrolled: 1-line block ×4, first 2 shown]
	s_and_saveexec_b32 s1, s0
	s_cbranch_execz .LBB0_14
; %bb.13:
	v_mul_i32_i24_e32 v21, 0x50, v104
	s_delay_alu instid0(VALU_DEP_1)
	v_add3_u32 v21, 0, v21, v112
	ds_store_b128 v21, v[8:11]
	ds_store_b128 v21, v[0:3] offset:16
	ds_store_b128 v21, v[4:7] offset:32
	;; [unrolled: 1-line block ×4, first 2 shown]
.LBB0_14:
	s_or_b32 exec_lo, exec_lo, s1
	v_lshlrev_b32_e32 v21, 6, v106
	s_waitcnt lgkmcnt(0)
	s_barrier
	buffer_gl0_inv
	ds_load_b128 v[24:27], v110
	ds_load_b128 v[92:95], v103 offset:3840
	v_sub_nc_u32_e32 v20, v20, v21
	v_lshlrev_b32_e32 v21, 4, v102
	ds_load_b128 v[88:91], v103 offset:7680
	ds_load_b128 v[52:55], v103 offset:8880
	;; [unrolled: 1-line block ×4, first 2 shown]
	v_lshlrev_b32_e32 v115, 4, v104
	v_add_nc_u32_e32 v113, v20, v112
	v_add3_u32 v114, 0, v21, v112
	ds_load_b128 v[20:23], v113
	ds_load_b128 v[64:67], v103 offset:5040
	ds_load_b128 v[40:43], v103 offset:6240
	;; [unrolled: 1-line block ×6, first 2 shown]
	ds_load_b128 v[28:31], v114
	ds_load_b128 v[36:39], v103 offset:17760
	s_and_saveexec_b32 s1, s0
	s_cbranch_execz .LBB0_16
; %bb.15:
	v_add3_u32 v8, 0, v115, v112
	ds_load_b128 v[0:3], v103 offset:7440
	ds_load_b128 v[4:7], v103 offset:11280
	ds_load_b128 v[8:11], v8
	ds_load_b128 v[12:15], v103 offset:15120
	ds_load_b128 v[16:19], v103 offset:18960
.LBB0_16:
	s_or_b32 exec_lo, exec_lo, s1
	v_and_b32_e32 v116, 0xff, v98
	v_and_b32_e32 v74, 0xff, v106
	s_mov_b32 s10, 0x134454ff
	s_mov_b32 s11, 0x3fee6f0e
	;; [unrolled: 1-line block ×3, first 2 shown]
	v_mul_lo_u16 v72, 0xcd, v116
	s_mov_b32 s12, s10
	s_mov_b32 s4, 0x4755a5e
	;; [unrolled: 1-line block ×4, first 2 shown]
	v_lshrrev_b16 v117, 10, v72
	v_and_b32_e32 v72, 0xff, v102
	s_mov_b32 s14, s4
	s_delay_alu instid0(VALU_DEP_2) | instskip(NEXT) | instid1(VALU_DEP_2)
	v_mul_lo_u16 v73, v117, 5
	v_mul_lo_u16 v72, 0xcd, v72
	s_delay_alu instid0(VALU_DEP_2) | instskip(NEXT) | instid1(VALU_DEP_2)
	v_sub_nc_u16 v73, v98, v73
	v_lshrrev_b16 v120, 10, v72
	v_and_b32_e32 v72, 0xffff, v104
	s_delay_alu instid0(VALU_DEP_3) | instskip(SKIP_1) | instid1(VALU_DEP_3)
	v_and_b32_e32 v119, 0xff, v73
	v_mul_lo_u16 v73, 0xcd, v74
	v_mul_u32_u24_e32 v72, 0xcccd, v72
	v_mul_lo_u16 v74, v120, 5
	s_delay_alu instid0(VALU_DEP_4) | instskip(NEXT) | instid1(VALU_DEP_4)
	v_lshlrev_b32_e32 v75, 6, v119
	v_lshrrev_b16 v121, 10, v73
	s_delay_alu instid0(VALU_DEP_4) | instskip(NEXT) | instid1(VALU_DEP_4)
	v_lshrrev_b32_e32 v72, 18, v72
	v_sub_nc_u16 v73, v102, v74
	s_clause 0x1
	global_load_b128 v[124:127], v75, s[8:9]
	global_load_b128 v[128:131], v75, s[8:9] offset:16
	v_mul_lo_u16 v74, v121, 5
	v_mul_lo_u16 v72, v72, 5
	v_and_b32_e32 v122, 0xff, v73
	s_clause 0x1
	global_load_b128 v[132:135], v75, s[8:9] offset:32
	global_load_b128 v[136:139], v75, s[8:9] offset:48
	v_sub_nc_u16 v73, v106, v74
	v_sub_nc_u16 v72, v104, v72
	v_lshlrev_b32_e32 v74, 6, v122
	s_delay_alu instid0(VALU_DEP_3) | instskip(NEXT) | instid1(VALU_DEP_3)
	v_and_b32_e32 v123, 0xff, v73
	v_and_b32_e32 v118, 0xffff, v72
	s_clause 0x1
	global_load_b128 v[140:143], v74, s[8:9]
	global_load_b128 v[144:147], v74, s[8:9] offset:16
	v_lshlrev_b32_e32 v73, 6, v123
	v_lshlrev_b32_e32 v72, 6, v118
	s_clause 0x9
	global_load_b128 v[148:151], v74, s[8:9] offset:32
	global_load_b128 v[152:155], v74, s[8:9] offset:48
	global_load_b128 v[156:159], v73, s[8:9]
	global_load_b128 v[160:163], v73, s[8:9] offset:16
	global_load_b128 v[164:167], v73, s[8:9] offset:32
	;; [unrolled: 1-line block ×3, first 2 shown]
	global_load_b128 v[84:87], v72, s[8:9]
	global_load_b128 v[80:83], v72, s[8:9] offset:16
	global_load_b128 v[76:79], v72, s[8:9] offset:32
	global_load_b128 v[72:75], v72, s[8:9] offset:48
	s_waitcnt vmcnt(0) lgkmcnt(0)
	s_barrier
	buffer_gl0_inv
	v_mul_f64 v[107:108], v[94:95], v[126:127]
	v_mul_f64 v[126:127], v[92:93], v[126:127]
	;; [unrolled: 1-line block ×26, first 2 shown]
	v_fma_f64 v[107:108], v[92:93], v[124:125], -v[107:108]
	v_fma_f64 v[92:93], v[94:95], v[124:125], v[126:127]
	v_mul_f64 v[94:95], v[0:1], v[86:87]
	v_mul_f64 v[124:125], v[6:7], v[82:83]
	;; [unrolled: 1-line block ×3, first 2 shown]
	v_fma_f64 v[82:83], v[88:89], v[128:129], -v[172:173]
	v_fma_f64 v[86:87], v[90:91], v[128:129], v[130:131]
	v_mul_f64 v[88:89], v[12:13], v[78:79]
	v_mul_f64 v[90:91], v[18:19], v[74:75]
	v_mul_f64 v[128:129], v[16:17], v[74:75]
	v_fma_f64 v[68:69], v[68:69], v[132:133], -v[174:175]
	v_fma_f64 v[58:59], v[58:59], v[136:137], v[176:177]
	v_fma_f64 v[70:71], v[70:71], v[132:133], v[134:135]
	v_fma_f64 v[56:57], v[56:57], v[136:137], -v[138:139]
	v_fma_f64 v[130:131], v[64:65], v[140:141], -v[178:179]
	v_fma_f64 v[132:133], v[66:67], v[140:141], v[142:143]
	v_fma_f64 v[64:65], v[52:53], v[144:145], -v[180:181]
	v_fma_f64 v[66:67], v[54:55], v[144:145], v[146:147]
	v_fma_f64 v[52:53], v[60:61], v[148:149], -v[182:183]
	v_fma_f64 v[48:49], v[48:49], v[152:153], -v[184:185]
	v_fma_f64 v[54:55], v[62:63], v[148:149], v[150:151]
	v_fma_f64 v[50:51], v[50:51], v[152:153], v[154:155]
	v_fma_f64 v[134:135], v[40:41], v[156:157], -v[186:187]
	v_fma_f64 v[136:137], v[42:43], v[156:157], v[158:159]
	v_fma_f64 v[44:45], v[44:45], v[160:161], -v[188:189]
	;; [unrolled: 2-line block ×3, first 2 shown]
	v_fma_f64 v[32:33], v[36:37], v[168:169], -v[192:193]
	v_fma_f64 v[36:37], v[34:35], v[164:165], v[166:167]
	v_fma_f64 v[34:35], v[38:39], v[168:169], v[170:171]
	v_fma_f64 v[74:75], v[0:1], v[84:85], -v[194:195]
	v_fma_f64 v[38:39], v[12:13], v[76:77], -v[196:197]
	v_add_f64 v[0:1], v[24:25], v[107:108]
	v_fma_f64 v[78:79], v[2:3], v[84:85], v[94:95]
	v_fma_f64 v[60:61], v[4:5], v[80:81], -v[124:125]
	v_fma_f64 v[62:63], v[6:7], v[80:81], v[126:127]
	v_add_f64 v[80:81], v[82:83], -v[107:108]
	v_add_f64 v[138:139], v[92:93], -v[86:87]
	v_fma_f64 v[46:47], v[14:15], v[76:77], v[88:89]
	v_fma_f64 v[12:13], v[16:17], v[72:73], -v[90:91]
	v_fma_f64 v[14:15], v[18:19], v[72:73], v[128:129]
	v_add_f64 v[2:3], v[82:83], v[68:69]
	v_add_f64 v[84:85], v[92:93], v[58:59]
	;; [unrolled: 1-line block ×4, first 2 shown]
	v_add_f64 v[4:5], v[92:93], -v[58:59]
	v_add_f64 v[6:7], v[86:87], -v[70:71]
	v_add_f64 v[72:73], v[107:108], -v[82:83]
	v_add_f64 v[76:77], v[56:57], -v[68:69]
	v_add_f64 v[94:95], v[64:65], v[52:53]
	v_add_f64 v[124:125], v[130:131], v[48:49]
	;; [unrolled: 1-line block ×4, first 2 shown]
	v_add_f64 v[88:89], v[68:69], -v[56:57]
	v_add_f64 v[90:91], v[26:27], v[92:93]
	v_add_f64 v[107:108], v[107:108], -v[56:57]
	v_add_f64 v[148:149], v[58:59], -v[70:71]
	v_add_f64 v[140:141], v[44:45], v[40:41]
	v_add_f64 v[142:143], v[134:135], v[32:33]
	;; [unrolled: 1-line block ×4, first 2 shown]
	v_add_f64 v[92:93], v[86:87], -v[92:93]
	v_add_f64 v[150:151], v[70:71], -v[58:59]
	v_add_f64 v[152:153], v[28:29], v[130:131]
	v_add_f64 v[154:155], v[130:131], -v[64:65]
	v_add_f64 v[156:157], v[48:49], -v[52:53]
	;; [unrolled: 1-line block ×4, first 2 shown]
	v_add_f64 v[162:163], v[30:31], v[132:133]
	v_add_f64 v[164:165], v[132:133], -v[66:67]
	v_add_f64 v[166:167], v[50:51], -v[54:55]
	;; [unrolled: 1-line block ×3, first 2 shown]
	v_add_f64 v[192:193], v[60:61], v[38:39]
	v_add_f64 v[170:171], v[54:55], -v[50:51]
	v_add_f64 v[172:173], v[20:21], v[134:135]
	v_add_f64 v[174:175], v[134:135], -v[44:45]
	v_add_f64 v[204:205], v[62:63], v[46:47]
	v_add_f64 v[198:199], v[74:75], v[12:13]
	;; [unrolled: 1-line block ×3, first 2 shown]
	v_add_f64 v[176:177], v[32:33], -v[40:41]
	v_add_f64 v[178:179], v[44:45], -v[134:135]
	v_add_f64 v[182:183], v[22:23], v[136:137]
	v_add_f64 v[184:185], v[136:137], -v[42:43]
	v_add_f64 v[186:187], v[34:35], -v[36:37]
	;; [unrolled: 1-line block ×6, first 2 shown]
	v_fma_f64 v[2:3], v[2:3], -0.5, v[24:25]
	v_fma_f64 v[220:221], v[16:17], -0.5, v[24:25]
	;; [unrolled: 1-line block ×4, first 2 shown]
	v_add_f64 v[224:225], v[64:65], -v[52:53]
	v_add_f64 v[136:137], v[136:137], -v[34:35]
	;; [unrolled: 1-line block ×4, first 2 shown]
	v_fma_f64 v[94:95], v[94:95], -0.5, v[28:29]
	v_fma_f64 v[124:125], v[124:125], -0.5, v[28:29]
	v_fma_f64 v[126:127], v[126:127], -0.5, v[30:31]
	v_fma_f64 v[128:129], v[128:129], -0.5, v[30:31]
	v_add_f64 v[16:17], v[78:79], -v[14:15]
	v_fma_f64 v[140:141], v[140:141], -0.5, v[20:21]
	v_fma_f64 v[142:143], v[142:143], -0.5, v[20:21]
	;; [unrolled: 1-line block ×4, first 2 shown]
	v_add_f64 v[20:21], v[62:63], -v[46:47]
	v_add_f64 v[18:19], v[74:75], -v[12:13]
	;; [unrolled: 1-line block ×5, first 2 shown]
	v_fma_f64 v[24:25], v[192:193], -0.5, v[8:9]
	v_add_f64 v[218:219], v[66:67], -v[54:55]
	v_add_f64 v[228:229], v[44:45], -v[40:41]
	;; [unrolled: 1-line block ×3, first 2 shown]
	v_fma_f64 v[28:29], v[204:205], -0.5, v[10:11]
	v_fma_f64 v[26:27], v[198:199], -0.5, v[8:9]
	;; [unrolled: 1-line block ×3, first 2 shown]
	v_add_f64 v[196:197], v[12:13], -v[38:39]
	v_add_f64 v[200:201], v[60:61], -v[74:75]
	;; [unrolled: 1-line block ×7, first 2 shown]
	v_add_f64 v[72:73], v[72:73], v[76:77]
	v_add_f64 v[76:77], v[80:81], v[88:89]
	;; [unrolled: 1-line block ×17, first 2 shown]
	v_fma_f64 v[164:165], v[4:5], s[10:11], v[2:3]
	v_fma_f64 v[2:3], v[4:5], s[12:13], v[2:3]
	v_fma_f64 v[166:167], v[6:7], s[12:13], v[220:221]
	v_fma_f64 v[168:169], v[6:7], s[10:11], v[220:221]
	v_fma_f64 v[170:171], v[107:108], s[12:13], v[222:223]
	v_fma_f64 v[172:173], v[107:108], s[10:11], v[222:223]
	v_fma_f64 v[174:175], v[212:213], s[10:11], v[84:85]
	v_fma_f64 v[176:177], v[132:133], s[10:11], v[94:95]
	v_fma_f64 v[182:183], v[224:225], s[10:11], v[128:129]
	v_fma_f64 v[184:185], v[136:137], s[10:11], v[140:141]
	v_fma_f64 v[186:187], v[226:227], s[12:13], v[142:143]
	v_fma_f64 v[188:189], v[134:135], s[12:13], v[144:145]
	v_fma_f64 v[192:193], v[16:17], s[10:11], v[24:25]
	v_fma_f64 v[198:199], v[20:21], s[12:13], v[26:27]
	v_fma_f64 v[204:205], v[18:19], s[12:13], v[28:29]
	v_fma_f64 v[210:211], v[22:23], s[10:11], v[30:31]
	v_fma_f64 v[84:85], v[212:213], s[12:13], v[84:85]
	v_add_f64 v[156:157], v[178:179], v[180:181]
	v_fma_f64 v[94:95], v[132:133], s[12:13], v[94:95]
	v_fma_f64 v[180:181], v[130:131], s[12:13], v[126:127]
	;; [unrolled: 1-line block ×11, first 2 shown]
	v_add_f64 v[42:43], v[194:195], v[196:197]
	v_add_f64 v[44:45], v[200:201], v[202:203]
	;; [unrolled: 1-line block ×10, first 2 shown]
	v_fma_f64 v[82:83], v[6:7], s[4:5], v[164:165]
	v_fma_f64 v[2:3], v[6:7], s[14:15], v[2:3]
	;; [unrolled: 1-line block ×28, first 2 shown]
	s_mov_b32 s12, 0x372fe950
	s_mov_b32 s13, 0x3fd3c6ef
	v_add_f64 v[52:53], v[0:1], v[56:57]
	v_add_f64 v[54:55], v[68:69], v[58:59]
	;; [unrolled: 1-line block ×6, first 2 shown]
	v_fma_f64 v[56:57], v[72:73], s[12:13], v[82:83]
	v_fma_f64 v[68:69], v[72:73], s[12:13], v[2:3]
	;; [unrolled: 1-line block ×7, first 2 shown]
	v_and_b32_e32 v36, 0xffff, v117
	v_and_b32_e32 v37, 0xffff, v120
	;; [unrolled: 1-line block ×3, first 2 shown]
	v_lshlrev_b32_e32 v41, 4, v119
	v_fma_f64 v[134:135], v[160:161], s[12:13], v[176:177]
	v_fma_f64 v[0:1], v[42:43], s[12:13], v[182:183]
	;; [unrolled: 1-line block ×21, first 2 shown]
	v_mad_u32_u24 v36, 0x190, v36, 0
	v_mad_u32_u24 v37, 0x190, v37, 0
	;; [unrolled: 1-line block ×3, first 2 shown]
	v_lshlrev_b32_e32 v72, 4, v122
	v_lshlrev_b32_e32 v73, 4, v123
	v_add3_u32 v36, v36, v41, v112
	s_delay_alu instid0(VALU_DEP_3) | instskip(NEXT) | instid1(VALU_DEP_3)
	v_add3_u32 v37, v37, v72, v112
	v_add3_u32 v40, v40, v73, v112
	ds_store_b128 v36, v[52:55]
	ds_store_b128 v36, v[56:59] offset:80
	ds_store_b128 v36, v[80:83] offset:160
	ds_store_b128 v36, v[84:87] offset:240
	ds_store_b128 v36, v[68:71] offset:320
	ds_store_b128 v37, v[48:51]
	ds_store_b128 v37, v[88:91] offset:80
	ds_store_b128 v37, v[124:127] offset:160
	ds_store_b128 v37, v[128:131] offset:240
	ds_store_b128 v37, v[92:95] offset:320
	;; [unrolled: 5-line block ×3, first 2 shown]
	s_and_saveexec_b32 s1, s0
	s_cbranch_execz .LBB0_18
; %bb.17:
	v_add_f64 v[10:11], v[10:11], v[78:79]
	v_add_f64 v[8:9], v[8:9], v[74:75]
	v_mul_f64 v[32:33], v[22:23], s[10:11]
	v_mul_f64 v[36:37], v[20:21], s[10:11]
	;; [unrolled: 1-line block ×8, first 2 shown]
	v_add_f64 v[10:11], v[10:11], v[62:63]
	v_add_f64 v[8:9], v[8:9], v[60:61]
	v_add_f64 v[30:31], v[30:31], -v[32:33]
	v_add_f64 v[26:27], v[36:37], v[26:27]
	v_add_f64 v[28:29], v[28:29], v[34:35]
	v_add_f64 v[24:25], v[24:25], -v[40:41]
	v_mul_f64 v[34:35], v[44:45], s[12:13]
	v_mul_f64 v[40:41], v[66:67], s[12:13]
	;; [unrolled: 1-line block ×4, first 2 shown]
	v_add_f64 v[10:11], v[10:11], v[46:47]
	v_add_f64 v[8:9], v[8:9], v[38:39]
	;; [unrolled: 1-line block ×3, first 2 shown]
	v_add_f64 v[16:17], v[26:27], -v[16:17]
	v_add_f64 v[22:23], v[22:23], v[28:29]
	v_add_f64 v[20:21], v[24:25], -v[20:21]
	v_add_f64 v[10:11], v[10:11], v[14:15]
	v_add_f64 v[8:9], v[8:9], v[12:13]
	v_add_f64 v[14:15], v[40:41], v[18:19]
	v_add_f64 v[12:13], v[34:35], v[16:17]
	v_add_f64 v[18:19], v[36:37], v[22:23]
	v_add_f64 v[16:17], v[32:33], v[20:21]
	v_and_b32_e32 v20, 0xff, v104
	v_lshlrev_b32_e32 v21, 4, v118
	s_delay_alu instid0(VALU_DEP_2) | instskip(NEXT) | instid1(VALU_DEP_1)
	v_mul_lo_u16 v20, 0xcd, v20
	v_lshrrev_b16 v20, 10, v20
	s_delay_alu instid0(VALU_DEP_1) | instskip(NEXT) | instid1(VALU_DEP_1)
	v_and_b32_e32 v20, 0xffff, v20
	v_mad_u32_u24 v20, 0x190, v20, 0
	s_delay_alu instid0(VALU_DEP_1)
	v_add3_u32 v20, v20, v21, v112
	ds_store_b128 v20, v[8:11]
	ds_store_b128 v20, v[0:3] offset:80
	ds_store_b128 v20, v[4:7] offset:160
	;; [unrolled: 1-line block ×4, first 2 shown]
.LBB0_18:
	s_or_b32 exec_lo, exec_lo, s1
	v_mul_lo_u16 v8, v116, 41
	s_waitcnt lgkmcnt(0)
	s_barrier
	buffer_gl0_inv
	v_add3_u32 v75, 0, v115, v112
	v_lshrrev_b16 v12, 10, v8
	s_mov_b32 s0, 0x667f3bcd
	s_mov_b32 s1, 0xbfe6a09e
	;; [unrolled: 1-line block ×4, first 2 shown]
	v_mul_lo_u16 v8, v12, 25
	s_mov_b32 s10, 0xcf328d46
	s_mov_b32 s11, 0xbfed906b
	;; [unrolled: 1-line block ×4, first 2 shown]
	v_sub_nc_u16 v8, v98, v8
	s_mov_b32 s12, 0xa6aea964
	s_mov_b32 s13, 0xbfd87de2
	;; [unrolled: 1-line block ×4, first 2 shown]
	v_and_b32_e32 v13, 0xff, v8
	v_and_b32_e32 v12, 0xffff, v12
	s_delay_alu instid0(VALU_DEP_2) | instskip(NEXT) | instid1(VALU_DEP_2)
	v_mul_u32_u24_e32 v8, 15, v13
	v_mad_u32_u24 v12, 0x1900, v12, 0
	v_lshlrev_b32_e32 v13, 4, v13
	s_delay_alu instid0(VALU_DEP_3)
	v_lshlrev_b32_e32 v66, 4, v8
	s_clause 0xe
	global_load_b128 v[8:11], v66, s[8:9] offset:320
	global_load_b128 v[14:17], v66, s[8:9] offset:336
	;; [unrolled: 1-line block ×15, first 2 shown]
	ds_load_b128 v[70:73], v114
	ds_load_b128 v[76:79], v113
	;; [unrolled: 1-line block ×3, first 2 shown]
	ds_load_b128 v[84:87], v103 offset:4800
	ds_load_b128 v[88:91], v103 offset:6000
	;; [unrolled: 1-line block ×12, first 2 shown]
	v_add3_u32 v12, v12, v13, v112
	s_waitcnt vmcnt(14) lgkmcnt(14)
	v_mul_f64 v[107:108], v[72:73], v[10:11]
	v_mul_f64 v[10:11], v[70:71], v[10:11]
	s_waitcnt vmcnt(13) lgkmcnt(13)
	v_mul_f64 v[151:152], v[78:79], v[16:17]
	v_mul_f64 v[16:17], v[76:77], v[16:17]
	;; [unrolled: 3-line block ×9, first 2 shown]
	s_waitcnt vmcnt(5)
	v_mul_f64 v[167:168], v[129:130], v[48:49]
	v_mul_f64 v[48:49], v[127:128], v[48:49]
	s_waitcnt vmcnt(4) lgkmcnt(1)
	v_mul_f64 v[169:170], v[145:146], v[52:53]
	v_mul_f64 v[52:53], v[143:144], v[52:53]
	s_waitcnt vmcnt(3)
	v_mul_f64 v[171:172], v[125:126], v[56:57]
	v_mul_f64 v[56:57], v[123:124], v[56:57]
	s_waitcnt vmcnt(2)
	;; [unrolled: 3-line block ×3, first 2 shown]
	v_mul_f64 v[175:176], v[133:134], v[64:65]
	v_mul_f64 v[64:65], v[131:132], v[64:65]
	s_waitcnt vmcnt(0) lgkmcnt(0)
	v_mul_f64 v[177:178], v[147:148], v[68:69]
	v_mul_f64 v[68:69], v[149:150], v[68:69]
	v_fma_f64 v[70:71], v[70:71], v[8:9], -v[107:108]
	v_fma_f64 v[72:73], v[72:73], v[8:9], v[10:11]
	v_fma_f64 v[76:77], v[76:77], v[14:15], -v[151:152]
	v_fma_f64 v[14:15], v[78:79], v[14:15], v[16:17]
	;; [unrolled: 2-line block ×14, first 2 shown]
	v_fma_f64 v[64:65], v[149:150], v[66:67], v[177:178]
	v_fma_f64 v[66:67], v[147:148], v[66:67], -v[68:69]
	ds_load_b128 v[8:11], v110
	s_waitcnt lgkmcnt(0)
	s_barrier
	buffer_gl0_inv
	v_add_f64 v[36:37], v[8:9], -v[36:37]
	v_add_f64 v[38:39], v[10:11], -v[38:39]
	;; [unrolled: 1-line block ×16, first 2 shown]
	v_fma_f64 v[8:9], v[8:9], 2.0, -v[36:37]
	v_fma_f64 v[10:11], v[10:11], 2.0, -v[38:39]
	v_add_f64 v[78:79], v[38:39], v[40:41]
	v_add_f64 v[68:69], v[36:37], -v[42:43]
	v_fma_f64 v[20:21], v[20:21], 2.0, -v[40:41]
	v_fma_f64 v[22:23], v[22:23], 2.0, -v[42:43]
	v_add_f64 v[82:83], v[46:47], v[48:49]
	v_add_f64 v[80:81], v[44:45], -v[50:51]
	;; [unrolled: 4-line block ×3, first 2 shown]
	v_fma_f64 v[28:29], v[28:29], 2.0, -v[48:49]
	v_fma_f64 v[30:31], v[30:31], 2.0, -v[50:51]
	v_add_f64 v[88:89], v[60:61], -v[64:65]
	v_add_f64 v[90:91], v[62:63], v[66:67]
	v_fma_f64 v[42:43], v[70:71], 2.0, -v[52:53]
	v_fma_f64 v[48:49], v[72:73], 2.0, -v[54:55]
	;; [unrolled: 1-line block ×10, first 2 shown]
	v_add_f64 v[20:21], v[8:9], -v[20:21]
	v_add_f64 v[22:23], v[10:11], -v[22:23]
	v_fma_f64 v[46:47], v[46:47], 2.0, -v[82:83]
	v_fma_f64 v[44:45], v[44:45], 2.0, -v[80:81]
	v_fma_f64 v[58:59], v[80:81], s[4:5], v[68:69]
	v_fma_f64 v[50:51], v[52:53], 2.0, -v[84:85]
	v_fma_f64 v[52:53], v[54:55], 2.0, -v[86:87]
	v_add_f64 v[28:29], v[40:41], -v[28:29]
	v_fma_f64 v[54:55], v[60:61], 2.0, -v[88:89]
	v_fma_f64 v[56:57], v[62:63], 2.0, -v[90:91]
	v_add_f64 v[30:31], v[14:15], -v[30:31]
	v_fma_f64 v[60:61], v[82:83], s[4:5], v[78:79]
	v_add_f64 v[24:25], v[42:43], -v[24:25]
	v_add_f64 v[26:27], v[48:49], -v[26:27]
	v_fma_f64 v[62:63], v[88:89], s[4:5], v[84:85]
	v_fma_f64 v[64:65], v[90:91], s[4:5], v[86:87]
	v_add_f64 v[34:35], v[18:19], -v[34:35]
	v_add_f64 v[32:33], v[16:17], -v[32:33]
	v_fma_f64 v[8:9], v[8:9], 2.0, -v[20:21]
	v_fma_f64 v[10:11], v[10:11], 2.0, -v[22:23]
	v_fma_f64 v[70:71], v[46:47], s[0:1], v[38:39]
	v_fma_f64 v[66:67], v[44:45], s[0:1], v[36:37]
	;; [unrolled: 1-line block ×3, first 2 shown]
	v_fma_f64 v[40:41], v[40:41], 2.0, -v[28:29]
	v_fma_f64 v[72:73], v[54:55], s[0:1], v[50:51]
	v_fma_f64 v[76:77], v[56:57], s[0:1], v[52:53]
	v_fma_f64 v[14:15], v[14:15], 2.0, -v[30:31]
	v_add_f64 v[92:93], v[20:21], -v[30:31]
	v_add_f64 v[94:95], v[22:23], v[28:29]
	v_fma_f64 v[60:61], v[80:81], s[4:5], v[60:61]
	v_fma_f64 v[62:63], v[90:91], s[0:1], v[62:63]
	;; [unrolled: 1-line block ×3, first 2 shown]
	v_add_f64 v[28:29], v[24:25], -v[34:35]
	v_add_f64 v[30:31], v[26:27], v[32:33]
	v_fma_f64 v[42:43], v[42:43], 2.0, -v[24:25]
	v_fma_f64 v[48:49], v[48:49], 2.0, -v[26:27]
	;; [unrolled: 1-line block ×4, first 2 shown]
	v_fma_f64 v[70:71], v[44:45], s[4:5], v[70:71]
	v_fma_f64 v[66:67], v[46:47], s[0:1], v[66:67]
	v_fma_f64 v[68:69], v[68:69], 2.0, -v[58:59]
	v_fma_f64 v[32:33], v[56:57], s[0:1], v[72:73]
	v_fma_f64 v[34:35], v[54:55], s[4:5], v[76:77]
	v_add_f64 v[54:55], v[8:9], -v[40:41]
	v_fma_f64 v[72:73], v[20:21], 2.0, -v[92:93]
	v_fma_f64 v[76:77], v[22:23], 2.0, -v[94:95]
	;; [unrolled: 1-line block ×4, first 2 shown]
	v_add_f64 v[56:57], v[10:11], -v[14:15]
	v_fma_f64 v[24:25], v[24:25], 2.0, -v[28:29]
	v_fma_f64 v[22:23], v[26:27], 2.0, -v[30:31]
	;; [unrolled: 1-line block ×3, first 2 shown]
	v_fma_f64 v[14:15], v[28:29], s[4:5], v[92:93]
	v_add_f64 v[20:21], v[42:43], -v[16:17]
	v_add_f64 v[18:19], v[48:49], -v[18:19]
	v_fma_f64 v[16:17], v[30:31], s[4:5], v[94:95]
	v_fma_f64 v[46:47], v[64:65], s[16:17], v[60:61]
	v_fma_f64 v[82:83], v[38:39], 2.0, -v[70:71]
	v_fma_f64 v[80:81], v[36:37], 2.0, -v[66:67]
	v_fma_f64 v[36:37], v[62:63], s[16:17], v[58:59]
	v_fma_f64 v[44:45], v[50:51], 2.0, -v[32:33]
	v_fma_f64 v[38:39], v[52:53], 2.0, -v[34:35]
	v_fma_f64 v[107:108], v[32:33], s[14:15], v[66:67]
	v_fma_f64 v[115:116], v[34:35], s[14:15], v[70:71]
	v_fma_f64 v[84:85], v[8:9], 2.0, -v[54:55]
	v_fma_f64 v[88:89], v[40:41], s[12:13], v[68:69]
	v_fma_f64 v[86:87], v[10:11], 2.0, -v[56:57]
	v_fma_f64 v[50:51], v[24:25], s[0:1], v[72:73]
	v_fma_f64 v[52:53], v[22:23], s[0:1], v[76:77]
	;; [unrolled: 1-line block ×4, first 2 shown]
	v_fma_f64 v[42:43], v[42:43], 2.0, -v[20:21]
	v_fma_f64 v[48:49], v[48:49], 2.0, -v[18:19]
	v_fma_f64 v[16:17], v[28:29], s[4:5], v[16:17]
	v_fma_f64 v[10:11], v[62:63], s[14:15], v[46:47]
	v_add_f64 v[18:19], v[54:55], -v[18:19]
	v_add_f64 v[20:21], v[56:57], v[20:21]
	v_fma_f64 v[8:9], v[64:65], s[12:13], v[36:37]
	v_fma_f64 v[117:118], v[44:45], s[10:11], v[80:81]
	;; [unrolled: 1-line block ×9, first 2 shown]
	v_cmp_gt_u32_e64 s0, 25, v98
	v_add_f64 v[34:35], v[84:85], -v[42:43]
	v_add_f64 v[36:37], v[86:87], -v[48:49]
	v_fma_f64 v[42:43], v[92:93], 2.0, -v[14:15]
	v_fma_f64 v[48:49], v[60:61], 2.0, -v[10:11]
	;; [unrolled: 1-line block ×5, first 2 shown]
	v_fma_f64 v[38:39], v[38:39], s[12:13], v[117:118]
	v_fma_f64 v[40:41], v[44:45], s[14:15], v[119:120]
	v_fma_f64 v[44:45], v[94:95], 2.0, -v[16:17]
	v_fma_f64 v[62:63], v[66:67], 2.0, -v[30:31]
	;; [unrolled: 1-line block ×11, first 2 shown]
	ds_store_b128 v12, v[14:17] offset:5600
	ds_store_b128 v12, v[8:11] offset:6000
	;; [unrolled: 1-line block ×14, first 2 shown]
	ds_store_b128 v12, v[66:69]
	ds_store_b128 v12, v[70:73] offset:400
	s_waitcnt lgkmcnt(0)
	s_barrier
	buffer_gl0_inv
	ds_load_b128 v[36:39], v103 offset:6400
	ds_load_b128 v[32:35], v103 offset:7600
	ds_load_b128 v[24:27], v114
	ds_load_b128 v[12:15], v113
	ds_load_b128 v[52:55], v103 offset:14000
	ds_load_b128 v[40:43], v103 offset:15200
	ds_load_b128 v[16:19], v75
	ds_load_b128 v[60:63], v103 offset:8800
	ds_load_b128 v[44:47], v103 offset:10000
	;; [unrolled: 3-line block ×3, first 2 shown]
	ds_load_b128 v[48:51], v103 offset:11200
	ds_load_b128 v[64:67], v103 offset:16400
	ds_load_b128 v[56:59], v103 offset:17600
	s_and_saveexec_b32 s1, s0
	s_cbranch_execz .LBB0_20
; %bb.19:
	ds_load_b128 v[8:11], v103 offset:6000
	ds_load_b128 v[0:3], v103 offset:12400
	;; [unrolled: 1-line block ×3, first 2 shown]
.LBB0_20:
	s_or_b32 exec_lo, exec_lo, s1
	v_dual_mov_b32 v74, 0 :: v_dual_lshlrev_b32 v73, 1, v98
	s_mov_b32 s4, 0xe8584caa
	s_mov_b32 s5, 0x3febb67a
	s_mov_b32 s11, 0xbfebb67a
	s_mov_b32 s10, s4
	v_lshlrev_b64 v[72:73], 4, v[73:74]
	s_delay_alu instid0(VALU_DEP_1) | instskip(NEXT) | instid1(VALU_DEP_1)
	v_add_co_u32 v72, s1, s8, v72
	v_add_co_ci_u32_e64 v78, s1, s9, v73, s1
	v_lshlrev_b32_e32 v73, 1, v102
	s_delay_alu instid0(VALU_DEP_3) | instskip(NEXT) | instid1(VALU_DEP_1)
	v_add_co_u32 v76, s1, 0x1000, v72
	v_add_co_ci_u32_e64 v77, s1, 0, v78, s1
	s_delay_alu instid0(VALU_DEP_3) | instskip(SKIP_3) | instid1(VALU_DEP_4)
	v_lshlrev_b64 v[84:85], 4, v[73:74]
	v_add_co_u32 v80, s1, 0x18b0, v72
	v_lshlrev_b32_e32 v73, 1, v106
	v_add_co_ci_u32_e64 v81, s1, 0, v78, s1
	v_add_co_u32 v86, s1, s8, v84
	s_delay_alu instid0(VALU_DEP_1) | instskip(NEXT) | instid1(VALU_DEP_4)
	v_add_co_ci_u32_e64 v87, s1, s9, v85, s1
	v_lshlrev_b64 v[84:85], 4, v[73:74]
	s_delay_alu instid0(VALU_DEP_3) | instskip(NEXT) | instid1(VALU_DEP_1)
	v_add_co_u32 v88, s1, 0x18b0, v86
	v_add_co_ci_u32_e64 v89, s1, 0, v87, s1
	v_lshlrev_b32_e32 v73, 1, v104
	s_delay_alu instid0(VALU_DEP_4) | instskip(NEXT) | instid1(VALU_DEP_1)
	v_add_co_u32 v90, s1, s8, v84
	v_add_co_ci_u32_e64 v91, s1, s9, v85, s1
	v_add_co_u32 v84, s1, 0x1000, v86
	v_add_nc_u32_e32 v72, 0x12c, v98
	v_add_co_ci_u32_e64 v85, s1, 0, v87, s1
	v_add_co_u32 v92, s1, 0x1000, v90
	v_lshlrev_b64 v[119:120], 4, v[73:74]
	v_add_co_ci_u32_e64 v93, s1, 0, v91, s1
	v_add_co_u32 v107, s1, 0x18b0, v90
	v_lshlrev_b32_e32 v73, 1, v72
	v_add_co_ci_u32_e64 v108, s1, 0, v91, s1
	v_add_co_u32 v112, s1, s8, v119
	s_clause 0x5
	global_load_b128 v[76:79], v[76:77], off offset:2224
	global_load_b128 v[80:83], v[80:81], off offset:16
	;; [unrolled: 1-line block ×6, first 2 shown]
	v_add_co_ci_u32_e64 v119, s1, s9, v120, s1
	v_lshlrev_b64 v[107:108], 4, v[73:74]
	v_add_co_u32 v123, s1, 0x18b0, v112
	s_delay_alu instid0(VALU_DEP_1) | instskip(NEXT) | instid1(VALU_DEP_3)
	v_add_co_ci_u32_e64 v124, s1, 0, v119, s1
	v_add_co_u32 v73, s1, s8, v107
	s_delay_alu instid0(VALU_DEP_1) | instskip(SKIP_1) | instid1(VALU_DEP_1)
	v_add_co_ci_u32_e64 v120, s1, s9, v108, s1
	v_add_co_u32 v107, s1, 0x1000, v112
	v_add_co_ci_u32_e64 v108, s1, 0, v119, s1
	s_delay_alu instid0(VALU_DEP_4) | instskip(NEXT) | instid1(VALU_DEP_1)
	v_add_co_u32 v131, s1, 0x18b0, v73
	v_add_co_ci_u32_e64 v132, s1, 0, v120, s1
	v_add_co_u32 v127, s1, 0x1000, v73
	s_delay_alu instid0(VALU_DEP_1)
	v_add_co_ci_u32_e64 v128, s1, 0, v120, s1
	s_clause 0x3
	global_load_b128 v[119:122], v[107:108], off offset:2224
	global_load_b128 v[123:126], v[123:124], off offset:16
	;; [unrolled: 1-line block ×4, first 2 shown]
	s_waitcnt vmcnt(0) lgkmcnt(0)
	s_barrier
	buffer_gl0_inv
	v_mul_f64 v[137:138], v[34:35], v[86:87]
	v_mul_f64 v[107:108], v[38:39], v[78:79]
	;; [unrolled: 1-line block ×20, first 2 shown]
	v_fma_f64 v[32:33], v[32:33], v[84:85], -v[137:138]
	v_fma_f64 v[36:37], v[36:37], v[76:77], -v[107:108]
	v_fma_f64 v[68:69], v[68:69], v[80:81], -v[135:136]
	v_fma_f64 v[38:39], v[38:39], v[76:77], v[78:79]
	v_fma_f64 v[70:71], v[70:71], v[80:81], v[82:83]
	v_fma_f64 v[52:53], v[52:53], v[88:89], -v[139:140]
	v_fma_f64 v[34:35], v[34:35], v[84:85], v[86:87]
	v_fma_f64 v[54:55], v[54:55], v[88:89], v[90:91]
	v_fma_f64 v[60:61], v[60:61], v[92:93], -v[141:142]
	v_fma_f64 v[40:41], v[40:41], v[115:116], -v[143:144]
	v_fma_f64 v[62:63], v[62:63], v[92:93], v[94:95]
	v_fma_f64 v[42:43], v[42:43], v[115:116], v[117:118]
	v_fma_f64 v[44:45], v[44:45], v[119:120], -v[145:146]
	;; [unrolled: 4-line block ×3, first 2 shown]
	v_fma_f64 v[56:57], v[56:57], v[131:132], -v[151:152]
	v_fma_f64 v[50:51], v[50:51], v[127:128], v[129:130]
	v_fma_f64 v[58:59], v[58:59], v[131:132], v[133:134]
	v_add_f64 v[117:118], v[24:25], v[32:33]
	v_add_f64 v[107:108], v[28:29], v[36:37]
	;; [unrolled: 1-line block ×3, first 2 shown]
	v_add_f64 v[133:134], v[36:37], -v[68:69]
	v_add_f64 v[78:79], v[38:39], v[70:71]
	v_add_f64 v[80:81], v[32:33], v[52:53]
	v_add_f64 v[115:116], v[38:39], -v[70:71]
	v_add_f64 v[82:83], v[34:35], v[54:55]
	v_add_f64 v[38:39], v[30:31], v[38:39]
	;; [unrolled: 1-line block ×7, first 2 shown]
	v_add_f64 v[135:136], v[34:35], -v[54:55]
	v_add_f64 v[137:138], v[32:33], -v[52:53]
	;; [unrolled: 1-line block ×4, first 2 shown]
	v_add_f64 v[125:126], v[16:17], v[44:45]
	v_add_f64 v[88:89], v[44:45], v[64:65]
	;; [unrolled: 1-line block ×8, first 2 shown]
	v_add_f64 v[139:140], v[46:47], -v[66:67]
	v_add_f64 v[141:142], v[44:45], -v[64:65]
	;; [unrolled: 1-line block ×4, first 2 shown]
	v_fma_f64 v[76:77], v[76:77], -0.5, v[28:29]
	v_fma_f64 v[78:79], v[78:79], -0.5, v[30:31]
	;; [unrolled: 1-line block ×5, first 2 shown]
	v_add_nc_u32_e32 v12, 0x177, v98
	v_fma_f64 v[86:87], v[86:87], -0.5, v[14:15]
	v_add_f64 v[13:14], v[107:108], v[68:69]
	v_lshl_add_u32 v69, v105, 4, v111
	v_add_f64 v[25:26], v[125:126], v[64:65]
	v_fma_f64 v[88:89], v[88:89], -0.5, v[16:17]
	v_add_f64 v[15:16], v[38:39], v[70:71]
	v_fma_f64 v[90:91], v[90:91], -0.5, v[18:19]
	;; [unrolled: 2-line block ×4, first 2 shown]
	v_add_f64 v[21:22], v[121:122], v[40:41]
	v_add_f64 v[23:24], v[123:124], v[42:43]
	;; [unrolled: 1-line block ×5, first 2 shown]
	v_fma_f64 v[33:34], v[115:116], s[4:5], v[76:77]
	v_fma_f64 v[37:38], v[115:116], s[10:11], v[76:77]
	;; [unrolled: 1-line block ×20, first 2 shown]
	ds_store_b128 v103, v[13:16]
	ds_store_b128 v103, v[33:36] offset:6400
	ds_store_b128 v103, v[37:40] offset:12800
	ds_store_b128 v114, v[17:20]
	ds_store_b128 v114, v[41:44] offset:6400
	ds_store_b128 v114, v[45:48] offset:12800
	;; [unrolled: 3-line block ×4, first 2 shown]
	ds_store_b128 v103, v[29:32] offset:4800
	ds_store_b128 v69, v[65:68] offset:11200
	;; [unrolled: 1-line block ×3, first 2 shown]
	s_and_saveexec_b32 s1, s0
	s_cbranch_execz .LBB0_22
; %bb.21:
	v_subrev_nc_u32_e32 v13, 25, v98
	s_delay_alu instid0(VALU_DEP_1) | instskip(NEXT) | instid1(VALU_DEP_1)
	v_cndmask_b32_e64 v13, v13, v12, s0
	v_lshlrev_b32_e32 v73, 1, v13
	s_delay_alu instid0(VALU_DEP_1) | instskip(NEXT) | instid1(VALU_DEP_1)
	v_lshlrev_b64 v[13:14], 4, v[73:74]
	v_add_co_u32 v15, s0, s8, v13
	s_delay_alu instid0(VALU_DEP_1) | instskip(NEXT) | instid1(VALU_DEP_2)
	v_add_co_ci_u32_e64 v16, s0, s9, v14, s0
	v_add_co_u32 v13, s0, 0x1000, v15
	s_delay_alu instid0(VALU_DEP_1) | instskip(SKIP_1) | instid1(VALU_DEP_1)
	v_add_co_ci_u32_e64 v14, s0, 0, v16, s0
	v_add_co_u32 v17, s0, 0x18b0, v15
	v_add_co_ci_u32_e64 v18, s0, 0, v16, s0
	s_clause 0x1
	global_load_b128 v[13:16], v[13:14], off offset:2224
	global_load_b128 v[17:20], v[17:18], off offset:16
	s_waitcnt vmcnt(1)
	v_mul_f64 v[21:22], v[0:1], v[15:16]
	s_waitcnt vmcnt(0)
	v_mul_f64 v[23:24], v[4:5], v[19:20]
	v_mul_f64 v[15:16], v[2:3], v[15:16]
	v_mul_f64 v[19:20], v[6:7], v[19:20]
	s_delay_alu instid0(VALU_DEP_4) | instskip(NEXT) | instid1(VALU_DEP_4)
	v_fma_f64 v[2:3], v[2:3], v[13:14], v[21:22]
	v_fma_f64 v[6:7], v[6:7], v[17:18], v[23:24]
	s_delay_alu instid0(VALU_DEP_4) | instskip(NEXT) | instid1(VALU_DEP_4)
	v_fma_f64 v[0:1], v[0:1], v[13:14], -v[15:16]
	v_fma_f64 v[4:5], v[4:5], v[17:18], -v[19:20]
	s_delay_alu instid0(VALU_DEP_4) | instskip(NEXT) | instid1(VALU_DEP_4)
	v_add_f64 v[19:20], v[10:11], v[2:3]
	v_add_f64 v[13:14], v[2:3], v[6:7]
	s_delay_alu instid0(VALU_DEP_3) | instskip(SKIP_2) | instid1(VALU_DEP_4)
	v_add_f64 v[15:16], v[0:1], v[4:5]
	v_add_f64 v[17:18], v[0:1], -v[4:5]
	v_add_f64 v[0:1], v[8:9], v[0:1]
	v_fma_f64 v[10:11], v[13:14], -0.5, v[10:11]
	v_add_f64 v[13:14], v[2:3], -v[6:7]
	v_fma_f64 v[15:16], v[15:16], -0.5, v[8:9]
	v_add_f64 v[2:3], v[19:20], v[6:7]
	v_add_f64 v[0:1], v[0:1], v[4:5]
	v_fma_f64 v[6:7], v[17:18], s[4:5], v[10:11]
	v_fma_f64 v[10:11], v[17:18], s[10:11], v[10:11]
	;; [unrolled: 1-line block ×4, first 2 shown]
	ds_store_b128 v103, v[0:3] offset:6000
	ds_store_b128 v103, v[8:11] offset:12400
	;; [unrolled: 1-line block ×3, first 2 shown]
.LBB0_22:
	s_or_b32 exec_lo, exec_lo, s1
	s_waitcnt lgkmcnt(0)
	s_barrier
	buffer_gl0_inv
	ds_load_b128 v[4:7], v110
	v_sub_nc_u32_e32 v14, v109, v99
	s_add_u32 s1, s8, 0x4ab0
	s_addc_u32 s4, s9, 0
	s_mov_b32 s5, exec_lo
                                        ; implicit-def: $vgpr0_vgpr1
                                        ; implicit-def: $vgpr8_vgpr9
                                        ; implicit-def: $vgpr10_vgpr11
	v_cmpx_ne_u32_e32 0, v98
	s_xor_b32 s5, exec_lo, s5
	s_cbranch_execz .LBB0_24
; %bb.23:
	v_mov_b32_e32 v99, 0
	s_delay_alu instid0(VALU_DEP_1) | instskip(NEXT) | instid1(VALU_DEP_1)
	v_lshlrev_b64 v[0:1], 4, v[98:99]
	v_add_co_u32 v0, s0, s1, v0
	s_delay_alu instid0(VALU_DEP_1)
	v_add_co_ci_u32_e64 v1, s0, s4, v1, s0
	global_load_b128 v[15:18], v[0:1], off
	ds_load_b128 v[0:3], v14 offset:19200
	s_waitcnt lgkmcnt(0)
	v_add_f64 v[8:9], v[4:5], -v[0:1]
	v_add_f64 v[10:11], v[6:7], v[2:3]
	v_add_f64 v[2:3], v[6:7], -v[2:3]
	v_add_f64 v[0:1], v[4:5], v[0:1]
	s_delay_alu instid0(VALU_DEP_4) | instskip(NEXT) | instid1(VALU_DEP_4)
	v_mul_f64 v[6:7], v[8:9], 0.5
	v_mul_f64 v[4:5], v[10:11], 0.5
	s_delay_alu instid0(VALU_DEP_4) | instskip(SKIP_1) | instid1(VALU_DEP_3)
	v_mul_f64 v[2:3], v[2:3], 0.5
	s_waitcnt vmcnt(0)
	v_mul_f64 v[8:9], v[6:7], v[17:18]
	s_delay_alu instid0(VALU_DEP_2) | instskip(SKIP_1) | instid1(VALU_DEP_3)
	v_fma_f64 v[10:11], v[4:5], v[17:18], v[2:3]
	v_fma_f64 v[2:3], v[4:5], v[17:18], -v[2:3]
	v_fma_f64 v[19:20], v[0:1], 0.5, v[8:9]
	v_fma_f64 v[0:1], v[0:1], 0.5, -v[8:9]
	s_delay_alu instid0(VALU_DEP_4) | instskip(NEXT) | instid1(VALU_DEP_4)
	v_fma_f64 v[10:11], -v[15:16], v[6:7], v[10:11]
	v_fma_f64 v[2:3], -v[15:16], v[6:7], v[2:3]
	s_delay_alu instid0(VALU_DEP_4) | instskip(NEXT) | instid1(VALU_DEP_4)
	v_fma_f64 v[8:9], v[4:5], v[15:16], v[19:20]
	v_fma_f64 v[0:1], -v[4:5], v[15:16], v[0:1]
                                        ; implicit-def: $vgpr4_vgpr5
.LBB0_24:
	s_and_not1_saveexec_b32 s0, s5
	s_cbranch_execz .LBB0_26
; %bb.25:
	s_waitcnt lgkmcnt(0)
	v_add_f64 v[8:9], v[4:5], v[6:7]
	v_add_f64 v[0:1], v[4:5], -v[6:7]
	ds_load_b64 v[4:5], v109 offset:9608
	v_mov_b32_e32 v10, 0
	v_mov_b32_e32 v11, 0
	s_delay_alu instid0(VALU_DEP_1)
	v_dual_mov_b32 v2, v10 :: v_dual_mov_b32 v3, v11
	s_waitcnt lgkmcnt(0)
	v_xor_b32_e32 v5, 0x80000000, v5
	ds_store_b64 v109, v[4:5] offset:9608
.LBB0_26:
	s_or_b32 exec_lo, exec_lo, s0
	v_mov_b32_e32 v103, 0
	v_lshl_add_u32 v13, v102, 4, v109
	v_lshl_add_u32 v23, v106, 4, v109
	;; [unrolled: 1-line block ×3, first 2 shown]
	s_waitcnt lgkmcnt(0)
	v_lshlrev_b64 v[4:5], 4, v[102:103]
	v_dual_mov_b32 v107, v103 :: v_dual_add_nc_u32 v102, 0x1c2, v98
	v_mov_b32_e32 v105, v103
	v_mov_b32_e32 v73, v103
	s_delay_alu instid0(VALU_DEP_4) | instskip(NEXT) | instid1(VALU_DEP_1)
	v_add_co_u32 v4, s0, s1, v4
	v_add_co_ci_u32_e64 v5, s0, s4, v5, s0
	v_lshlrev_b64 v[15:16], 4, v[106:107]
	global_load_b128 v[4:7], v[4:5], off
	v_add_co_u32 v15, s0, s1, v15
	s_delay_alu instid0(VALU_DEP_1)
	v_add_co_ci_u32_e64 v16, s0, s4, v16, s0
	global_load_b128 v[15:18], v[15:16], off
	ds_store_2addr_b64 v110, v[8:9], v[10:11] offset1:1
	ds_store_b128 v14, v[0:3] offset:19200
	ds_load_b128 v[0:3], v13
	ds_load_b128 v[8:11], v14 offset:18000
	s_waitcnt lgkmcnt(0)
	v_add_f64 v[19:20], v[0:1], -v[8:9]
	v_add_f64 v[21:22], v[2:3], v[10:11]
	v_add_f64 v[2:3], v[2:3], -v[10:11]
	v_add_f64 v[0:1], v[0:1], v[8:9]
	s_delay_alu instid0(VALU_DEP_4) | instskip(NEXT) | instid1(VALU_DEP_4)
	v_mul_f64 v[10:11], v[19:20], 0.5
	v_mul_f64 v[19:20], v[21:22], 0.5
	s_delay_alu instid0(VALU_DEP_4) | instskip(SKIP_1) | instid1(VALU_DEP_3)
	v_mul_f64 v[2:3], v[2:3], 0.5
	s_waitcnt vmcnt(1)
	v_mul_f64 v[8:9], v[10:11], v[6:7]
	s_delay_alu instid0(VALU_DEP_2) | instskip(SKIP_1) | instid1(VALU_DEP_3)
	v_fma_f64 v[21:22], v[19:20], v[6:7], v[2:3]
	v_fma_f64 v[2:3], v[19:20], v[6:7], -v[2:3]
	v_fma_f64 v[6:7], v[0:1], 0.5, v[8:9]
	v_fma_f64 v[0:1], v[0:1], 0.5, -v[8:9]
	s_delay_alu instid0(VALU_DEP_4) | instskip(NEXT) | instid1(VALU_DEP_4)
	v_fma_f64 v[8:9], -v[4:5], v[10:11], v[21:22]
	v_fma_f64 v[2:3], -v[4:5], v[10:11], v[2:3]
	s_delay_alu instid0(VALU_DEP_4) | instskip(NEXT) | instid1(VALU_DEP_4)
	v_fma_f64 v[10:11], v[19:20], v[4:5], v[6:7]
	v_fma_f64 v[0:1], -v[19:20], v[4:5], v[0:1]
	v_lshlrev_b64 v[4:5], 4, v[104:105]
	s_delay_alu instid0(VALU_DEP_1) | instskip(NEXT) | instid1(VALU_DEP_1)
	v_add_co_u32 v4, s0, s1, v4
	v_add_co_ci_u32_e64 v5, s0, s4, v5, s0
	global_load_b128 v[4:7], v[4:5], off
	ds_store_2addr_b64 v13, v[10:11], v[8:9] offset1:1
	ds_store_b128 v14, v[0:3] offset:18000
	ds_load_b128 v[0:3], v23
	ds_load_b128 v[8:11], v14 offset:16800
	v_mov_b32_e32 v13, v103
	s_waitcnt lgkmcnt(0)
	v_add_f64 v[19:20], v[0:1], -v[8:9]
	v_add_f64 v[21:22], v[2:3], v[10:11]
	v_add_f64 v[2:3], v[2:3], -v[10:11]
	v_add_f64 v[0:1], v[0:1], v[8:9]
	s_delay_alu instid0(VALU_DEP_4) | instskip(NEXT) | instid1(VALU_DEP_4)
	v_mul_f64 v[10:11], v[19:20], 0.5
	v_mul_f64 v[19:20], v[21:22], 0.5
	s_delay_alu instid0(VALU_DEP_4) | instskip(SKIP_1) | instid1(VALU_DEP_3)
	v_mul_f64 v[2:3], v[2:3], 0.5
	s_waitcnt vmcnt(1)
	v_mul_f64 v[8:9], v[10:11], v[17:18]
	s_delay_alu instid0(VALU_DEP_2) | instskip(SKIP_1) | instid1(VALU_DEP_3)
	v_fma_f64 v[21:22], v[19:20], v[17:18], v[2:3]
	v_fma_f64 v[2:3], v[19:20], v[17:18], -v[2:3]
	v_fma_f64 v[17:18], v[0:1], 0.5, v[8:9]
	v_fma_f64 v[0:1], v[0:1], 0.5, -v[8:9]
	s_delay_alu instid0(VALU_DEP_4) | instskip(NEXT) | instid1(VALU_DEP_4)
	v_fma_f64 v[21:22], -v[15:16], v[10:11], v[21:22]
	v_fma_f64 v[2:3], -v[15:16], v[10:11], v[2:3]
	v_lshlrev_b64 v[8:9], 4, v[72:73]
	s_delay_alu instid0(VALU_DEP_1) | instskip(NEXT) | instid1(VALU_DEP_1)
	v_add_co_u32 v8, s0, s1, v8
	v_add_co_ci_u32_e64 v9, s0, s4, v9, s0
	global_load_b128 v[8:11], v[8:9], off
	v_fma_f64 v[17:18], v[19:20], v[15:16], v[17:18]
	v_fma_f64 v[0:1], -v[19:20], v[15:16], v[0:1]
	ds_store_2addr_b64 v23, v[17:18], v[21:22] offset1:1
	ds_store_b128 v14, v[0:3] offset:16800
	ds_load_b128 v[0:3], v24
	ds_load_b128 v[15:18], v14 offset:15600
	s_waitcnt lgkmcnt(0)
	v_add_f64 v[19:20], v[0:1], -v[15:16]
	v_add_f64 v[21:22], v[2:3], v[17:18]
	v_add_f64 v[2:3], v[2:3], -v[17:18]
	v_add_f64 v[0:1], v[0:1], v[15:16]
	s_delay_alu instid0(VALU_DEP_4) | instskip(NEXT) | instid1(VALU_DEP_4)
	v_mul_f64 v[17:18], v[19:20], 0.5
	v_mul_f64 v[19:20], v[21:22], 0.5
	s_delay_alu instid0(VALU_DEP_4) | instskip(SKIP_1) | instid1(VALU_DEP_3)
	v_mul_f64 v[2:3], v[2:3], 0.5
	s_waitcnt vmcnt(1)
	v_mul_f64 v[15:16], v[17:18], v[6:7]
	s_delay_alu instid0(VALU_DEP_2) | instskip(SKIP_1) | instid1(VALU_DEP_3)
	v_fma_f64 v[21:22], v[19:20], v[6:7], v[2:3]
	v_fma_f64 v[2:3], v[19:20], v[6:7], -v[2:3]
	v_fma_f64 v[6:7], v[0:1], 0.5, v[15:16]
	v_fma_f64 v[0:1], v[0:1], 0.5, -v[15:16]
	s_delay_alu instid0(VALU_DEP_4) | instskip(NEXT) | instid1(VALU_DEP_4)
	v_fma_f64 v[15:16], -v[4:5], v[17:18], v[21:22]
	v_fma_f64 v[2:3], -v[4:5], v[17:18], v[2:3]
	v_add_nc_u32_e32 v21, 0x1000, v110
	v_fma_f64 v[17:18], v[19:20], v[4:5], v[6:7]
	v_fma_f64 v[0:1], -v[19:20], v[4:5], v[0:1]
	v_lshlrev_b64 v[4:5], 4, v[12:13]
	s_delay_alu instid0(VALU_DEP_1) | instskip(NEXT) | instid1(VALU_DEP_1)
	v_add_co_u32 v4, s0, s1, v4
	v_add_co_ci_u32_e64 v5, s0, s4, v5, s0
	global_load_b128 v[4:7], v[4:5], off
	ds_store_2addr_b64 v24, v[17:18], v[15:16] offset1:1
	ds_store_b128 v14, v[0:3] offset:15600
	ds_load_b128 v[0:3], v110 offset:4800
	ds_load_b128 v[15:18], v14 offset:14400
	s_waitcnt lgkmcnt(0)
	v_add_f64 v[12:13], v[0:1], -v[15:16]
	v_add_f64 v[19:20], v[2:3], v[17:18]
	v_add_f64 v[2:3], v[2:3], -v[17:18]
	v_add_f64 v[0:1], v[0:1], v[15:16]
	s_delay_alu instid0(VALU_DEP_4) | instskip(NEXT) | instid1(VALU_DEP_4)
	v_mul_f64 v[12:13], v[12:13], 0.5
	v_mul_f64 v[17:18], v[19:20], 0.5
	s_delay_alu instid0(VALU_DEP_4) | instskip(SKIP_1) | instid1(VALU_DEP_3)
	v_mul_f64 v[2:3], v[2:3], 0.5
	s_waitcnt vmcnt(1)
	v_mul_f64 v[15:16], v[12:13], v[10:11]
	s_delay_alu instid0(VALU_DEP_2) | instskip(SKIP_1) | instid1(VALU_DEP_3)
	v_fma_f64 v[19:20], v[17:18], v[10:11], v[2:3]
	v_fma_f64 v[2:3], v[17:18], v[10:11], -v[2:3]
	v_fma_f64 v[10:11], v[0:1], 0.5, v[15:16]
	v_fma_f64 v[0:1], v[0:1], 0.5, -v[15:16]
	s_delay_alu instid0(VALU_DEP_4) | instskip(NEXT) | instid1(VALU_DEP_4)
	v_fma_f64 v[15:16], -v[8:9], v[12:13], v[19:20]
	v_fma_f64 v[2:3], -v[8:9], v[12:13], v[2:3]
	s_delay_alu instid0(VALU_DEP_4) | instskip(NEXT) | instid1(VALU_DEP_4)
	v_fma_f64 v[12:13], v[17:18], v[8:9], v[10:11]
	v_fma_f64 v[0:1], -v[17:18], v[8:9], v[0:1]
	v_lshlrev_b64 v[8:9], 4, v[102:103]
	v_add_nc_u32_e32 v102, 0x20d, v98
	s_delay_alu instid0(VALU_DEP_2) | instskip(NEXT) | instid1(VALU_DEP_1)
	v_add_co_u32 v8, s0, s1, v8
	v_add_co_ci_u32_e64 v9, s0, s4, v9, s0
	global_load_b128 v[8:11], v[8:9], off
	ds_store_2addr_b64 v21, v[12:13], v[15:16] offset0:88 offset1:89
	ds_store_b128 v14, v[0:3] offset:14400
	ds_load_b128 v[0:3], v110 offset:6000
	ds_load_b128 v[15:18], v14 offset:13200
	s_waitcnt lgkmcnt(0)
	v_add_f64 v[12:13], v[0:1], -v[15:16]
	v_add_f64 v[19:20], v[2:3], v[17:18]
	v_add_f64 v[2:3], v[2:3], -v[17:18]
	v_add_f64 v[0:1], v[0:1], v[15:16]
	s_delay_alu instid0(VALU_DEP_4) | instskip(NEXT) | instid1(VALU_DEP_4)
	v_mul_f64 v[12:13], v[12:13], 0.5
	v_mul_f64 v[17:18], v[19:20], 0.5
	s_delay_alu instid0(VALU_DEP_4) | instskip(SKIP_1) | instid1(VALU_DEP_3)
	v_mul_f64 v[2:3], v[2:3], 0.5
	s_waitcnt vmcnt(1)
	v_mul_f64 v[15:16], v[12:13], v[6:7]
	s_delay_alu instid0(VALU_DEP_2) | instskip(SKIP_1) | instid1(VALU_DEP_3)
	v_fma_f64 v[19:20], v[17:18], v[6:7], v[2:3]
	v_fma_f64 v[2:3], v[17:18], v[6:7], -v[2:3]
	v_fma_f64 v[6:7], v[0:1], 0.5, v[15:16]
	v_fma_f64 v[0:1], v[0:1], 0.5, -v[15:16]
	s_delay_alu instid0(VALU_DEP_4) | instskip(NEXT) | instid1(VALU_DEP_4)
	v_fma_f64 v[15:16], -v[4:5], v[12:13], v[19:20]
	v_fma_f64 v[2:3], -v[4:5], v[12:13], v[2:3]
	s_delay_alu instid0(VALU_DEP_4) | instskip(NEXT) | instid1(VALU_DEP_4)
	v_fma_f64 v[12:13], v[17:18], v[4:5], v[6:7]
	v_fma_f64 v[0:1], -v[17:18], v[4:5], v[0:1]
	v_lshlrev_b64 v[4:5], 4, v[102:103]
	s_delay_alu instid0(VALU_DEP_1) | instskip(NEXT) | instid1(VALU_DEP_1)
	v_add_co_u32 v4, s0, s1, v4
	v_add_co_ci_u32_e64 v5, s0, s4, v5, s0
	global_load_b128 v[4:7], v[4:5], off
	ds_store_2addr_b64 v21, v[12:13], v[15:16] offset0:238 offset1:239
	ds_store_b128 v14, v[0:3] offset:13200
	ds_load_b128 v[0:3], v110 offset:7200
	ds_load_b128 v[15:18], v14 offset:12000
	s_waitcnt lgkmcnt(0)
	v_add_f64 v[12:13], v[0:1], -v[15:16]
	v_add_f64 v[19:20], v[2:3], v[17:18]
	v_add_f64 v[2:3], v[2:3], -v[17:18]
	v_add_f64 v[0:1], v[0:1], v[15:16]
	s_delay_alu instid0(VALU_DEP_4) | instskip(NEXT) | instid1(VALU_DEP_4)
	v_mul_f64 v[12:13], v[12:13], 0.5
	v_mul_f64 v[17:18], v[19:20], 0.5
	s_delay_alu instid0(VALU_DEP_4) | instskip(SKIP_1) | instid1(VALU_DEP_3)
	v_mul_f64 v[2:3], v[2:3], 0.5
	s_waitcnt vmcnt(1)
	v_mul_f64 v[15:16], v[12:13], v[10:11]
	s_delay_alu instid0(VALU_DEP_2) | instskip(SKIP_1) | instid1(VALU_DEP_3)
	v_fma_f64 v[19:20], v[17:18], v[10:11], v[2:3]
	v_fma_f64 v[2:3], v[17:18], v[10:11], -v[2:3]
	v_fma_f64 v[10:11], v[0:1], 0.5, v[15:16]
	v_fma_f64 v[0:1], v[0:1], 0.5, -v[15:16]
	s_delay_alu instid0(VALU_DEP_4) | instskip(NEXT) | instid1(VALU_DEP_4)
	v_fma_f64 v[15:16], -v[8:9], v[12:13], v[19:20]
	v_fma_f64 v[2:3], -v[8:9], v[12:13], v[2:3]
	s_delay_alu instid0(VALU_DEP_4) | instskip(NEXT) | instid1(VALU_DEP_4)
	v_fma_f64 v[10:11], v[17:18], v[8:9], v[10:11]
	v_fma_f64 v[0:1], -v[17:18], v[8:9], v[0:1]
	v_add_nc_u32_e32 v8, 0x1800, v110
	ds_store_2addr_b64 v8, v[10:11], v[15:16] offset0:132 offset1:133
	ds_store_b128 v14, v[0:3] offset:12000
	ds_load_b128 v[0:3], v110 offset:8400
	ds_load_b128 v[8:11], v14 offset:10800
	s_waitcnt lgkmcnt(0)
	v_add_f64 v[12:13], v[0:1], -v[8:9]
	v_add_f64 v[15:16], v[2:3], v[10:11]
	v_add_f64 v[2:3], v[2:3], -v[10:11]
	v_add_f64 v[0:1], v[0:1], v[8:9]
	s_delay_alu instid0(VALU_DEP_4) | instskip(NEXT) | instid1(VALU_DEP_4)
	v_mul_f64 v[10:11], v[12:13], 0.5
	v_mul_f64 v[12:13], v[15:16], 0.5
	s_delay_alu instid0(VALU_DEP_4) | instskip(SKIP_1) | instid1(VALU_DEP_3)
	v_mul_f64 v[2:3], v[2:3], 0.5
	s_waitcnt vmcnt(0)
	v_mul_f64 v[8:9], v[10:11], v[6:7]
	s_delay_alu instid0(VALU_DEP_2) | instskip(SKIP_1) | instid1(VALU_DEP_3)
	v_fma_f64 v[15:16], v[12:13], v[6:7], v[2:3]
	v_fma_f64 v[2:3], v[12:13], v[6:7], -v[2:3]
	v_fma_f64 v[6:7], v[0:1], 0.5, v[8:9]
	v_fma_f64 v[0:1], v[0:1], 0.5, -v[8:9]
	s_delay_alu instid0(VALU_DEP_4) | instskip(NEXT) | instid1(VALU_DEP_4)
	v_fma_f64 v[8:9], -v[4:5], v[10:11], v[15:16]
	v_fma_f64 v[2:3], -v[4:5], v[10:11], v[2:3]
	s_delay_alu instid0(VALU_DEP_4) | instskip(NEXT) | instid1(VALU_DEP_4)
	v_fma_f64 v[6:7], v[12:13], v[4:5], v[6:7]
	v_fma_f64 v[0:1], -v[12:13], v[4:5], v[0:1]
	v_add_nc_u32_e32 v4, 0x2000, v110
	ds_store_2addr_b64 v4, v[6:7], v[8:9] offset0:26 offset1:27
	ds_store_b128 v14, v[0:3] offset:10800
	s_waitcnt lgkmcnt(0)
	s_barrier
	buffer_gl0_inv
	s_and_saveexec_b32 s0, vcc_lo
	s_cbranch_execz .LBB0_29
; %bb.27:
	v_mul_lo_u32 v0, s3, v100
	v_mul_lo_u32 v3, s2, v101
	v_mad_u64_u32 v[1:2], null, s2, v100, 0
	v_dual_mov_b32 v99, v103 :: v_dual_add_nc_u32 v102, 0x4b, v98
	v_lshlrev_b64 v[11:12], 4, v[96:97]
	s_delay_alu instid0(VALU_DEP_2) | instskip(NEXT) | instid1(VALU_DEP_4)
	v_lshlrev_b64 v[13:14], 4, v[98:99]
	v_add3_u32 v2, v2, v3, v0
	v_lshl_add_u32 v0, v98, 4, v109
	v_lshlrev_b64 v[19:20], 4, v[102:103]
	ds_load_b128 v[3:6], v0
	ds_load_b128 v[7:10], v0 offset:1200
	v_lshlrev_b64 v[1:2], 4, v[1:2]
	v_add_nc_u32_e32 v102, 0x96, v98
	s_delay_alu instid0(VALU_DEP_2) | instskip(NEXT) | instid1(VALU_DEP_3)
	v_add_co_u32 v1, vcc_lo, s6, v1
	v_add_co_ci_u32_e32 v2, vcc_lo, s7, v2, vcc_lo
	s_delay_alu instid0(VALU_DEP_3) | instskip(NEXT) | instid1(VALU_DEP_3)
	v_lshlrev_b64 v[21:22], 4, v[102:103]
	v_add_co_u32 v1, vcc_lo, v1, v11
	s_delay_alu instid0(VALU_DEP_3) | instskip(SKIP_1) | instid1(VALU_DEP_3)
	v_add_co_ci_u32_e32 v2, vcc_lo, v2, v12, vcc_lo
	v_add_nc_u32_e32 v102, 0xe1, v98
	v_add_co_u32 v23, vcc_lo, v1, v13
	s_delay_alu instid0(VALU_DEP_3)
	v_add_co_ci_u32_e32 v24, vcc_lo, v2, v14, vcc_lo
	ds_load_b128 v[11:14], v0 offset:2400
	ds_load_b128 v[15:18], v0 offset:3600
	v_add_co_u32 v19, vcc_lo, v1, v19
	v_lshlrev_b64 v[25:26], 4, v[102:103]
	v_add_nc_u32_e32 v102, 0x12c, v98
	v_add_co_ci_u32_e32 v20, vcc_lo, v2, v20, vcc_lo
	v_add_co_u32 v21, vcc_lo, v1, v21
	v_add_co_ci_u32_e32 v22, vcc_lo, v2, v22, vcc_lo
	v_add_co_u32 v25, vcc_lo, v1, v25
	v_lshlrev_b64 v[27:28], 4, v[102:103]
	v_add_nc_u32_e32 v102, 0x177, v98
	v_add_co_ci_u32_e32 v26, vcc_lo, v2, v26, vcc_lo
	s_waitcnt lgkmcnt(3)
	global_store_b128 v[23:24], v[3:6], off
	s_waitcnt lgkmcnt(2)
	global_store_b128 v[19:20], v[7:10], off
	;; [unrolled: 2-line block ×4, first 2 shown]
	v_lshlrev_b64 v[19:20], 4, v[102:103]
	v_add_nc_u32_e32 v102, 0x1c2, v98
	ds_load_b128 v[3:6], v0 offset:4800
	ds_load_b128 v[7:10], v0 offset:6000
	;; [unrolled: 1-line block ×4, first 2 shown]
	v_add_co_u32 v21, vcc_lo, v1, v27
	v_lshlrev_b64 v[23:24], 4, v[102:103]
	v_add_nc_u32_e32 v102, 0x20d, v98
	v_add_co_ci_u32_e32 v22, vcc_lo, v2, v28, vcc_lo
	v_add_co_u32 v19, vcc_lo, v1, v19
	s_delay_alu instid0(VALU_DEP_3)
	v_lshlrev_b64 v[25:26], 4, v[102:103]
	v_add_nc_u32_e32 v102, 0x258, v98
	v_add_co_ci_u32_e32 v20, vcc_lo, v2, v20, vcc_lo
	v_add_co_u32 v23, vcc_lo, v1, v23
	v_add_co_ci_u32_e32 v24, vcc_lo, v2, v24, vcc_lo
	v_add_co_u32 v25, vcc_lo, v1, v25
	v_lshlrev_b64 v[27:28], 4, v[102:103]
	v_add_nc_u32_e32 v102, 0x2a3, v98
	v_add_co_ci_u32_e32 v26, vcc_lo, v2, v26, vcc_lo
	s_waitcnt lgkmcnt(3)
	global_store_b128 v[21:22], v[3:6], off
	s_waitcnt lgkmcnt(2)
	global_store_b128 v[19:20], v[7:10], off
	;; [unrolled: 2-line block ×4, first 2 shown]
	ds_load_b128 v[3:6], v0 offset:9600
	ds_load_b128 v[7:10], v0 offset:10800
	v_lshlrev_b64 v[19:20], 4, v[102:103]
	v_add_nc_u32_e32 v102, 0x2ee, v98
	ds_load_b128 v[11:14], v0 offset:12000
	ds_load_b128 v[15:18], v0 offset:13200
	v_add_co_u32 v21, vcc_lo, v1, v27
	v_add_co_ci_u32_e32 v22, vcc_lo, v2, v28, vcc_lo
	v_lshlrev_b64 v[23:24], 4, v[102:103]
	v_add_nc_u32_e32 v102, 0x339, v98
	v_add_co_u32 v19, vcc_lo, v1, v19
	v_add_co_ci_u32_e32 v20, vcc_lo, v2, v20, vcc_lo
	s_delay_alu instid0(VALU_DEP_3) | instskip(SKIP_3) | instid1(VALU_DEP_3)
	v_lshlrev_b64 v[25:26], 4, v[102:103]
	v_add_nc_u32_e32 v102, 0x384, v98
	v_add_co_u32 v23, vcc_lo, v1, v23
	v_add_co_ci_u32_e32 v24, vcc_lo, v2, v24, vcc_lo
	v_lshlrev_b64 v[27:28], 4, v[102:103]
	v_add_nc_u32_e32 v102, 0x3cf, v98
	v_add_co_u32 v25, vcc_lo, v1, v25
	v_add_co_ci_u32_e32 v26, vcc_lo, v2, v26, vcc_lo
	s_waitcnt lgkmcnt(3)
	global_store_b128 v[21:22], v[3:6], off
	s_waitcnt lgkmcnt(2)
	global_store_b128 v[19:20], v[7:10], off
	;; [unrolled: 2-line block ×4, first 2 shown]
	v_lshlrev_b64 v[21:22], 4, v[102:103]
	v_add_nc_u32_e32 v102, 0x41a, v98
	ds_load_b128 v[3:6], v0 offset:14400
	ds_load_b128 v[7:10], v0 offset:15600
	;; [unrolled: 1-line block ×4, first 2 shown]
	v_add_co_u32 v19, vcc_lo, v1, v27
	v_add_co_ci_u32_e32 v20, vcc_lo, v2, v28, vcc_lo
	v_lshlrev_b64 v[23:24], 4, v[102:103]
	v_add_nc_u32_e32 v102, 0x465, v98
	v_add_co_u32 v21, vcc_lo, v1, v21
	v_add_co_ci_u32_e32 v22, vcc_lo, v2, v22, vcc_lo
	s_delay_alu instid0(VALU_DEP_3) | instskip(SKIP_2) | instid1(VALU_DEP_3)
	v_lshlrev_b64 v[25:26], 4, v[102:103]
	v_add_co_u32 v23, vcc_lo, v1, v23
	v_add_co_ci_u32_e32 v24, vcc_lo, v2, v24, vcc_lo
	v_add_co_u32 v25, vcc_lo, v1, v25
	s_delay_alu instid0(VALU_DEP_4)
	v_add_co_ci_u32_e32 v26, vcc_lo, v2, v26, vcc_lo
	v_cmp_eq_u32_e32 vcc_lo, 0x4a, v98
	s_waitcnt lgkmcnt(3)
	global_store_b128 v[19:20], v[3:6], off
	s_waitcnt lgkmcnt(2)
	global_store_b128 v[21:22], v[7:10], off
	s_waitcnt lgkmcnt(1)
	global_store_b128 v[23:24], v[11:14], off
	s_waitcnt lgkmcnt(0)
	global_store_b128 v[25:26], v[15:18], off
	s_and_b32 exec_lo, exec_lo, vcc_lo
	s_cbranch_execz .LBB0_29
; %bb.28:
	ds_load_b128 v[3:6], v0 offset:18016
	v_add_co_u32 v0, vcc_lo, 0x4000, v1
	v_add_co_ci_u32_e32 v1, vcc_lo, 0, v2, vcc_lo
	s_waitcnt lgkmcnt(0)
	global_store_b128 v[0:1], v[3:6], off offset:2816
.LBB0_29:
	s_nop 0
	s_sendmsg sendmsg(MSG_DEALLOC_VGPRS)
	s_endpgm
	.section	.rodata,"a",@progbits
	.p2align	6, 0x0
	.amdhsa_kernel fft_rtc_fwd_len1200_factors_5_5_16_3_wgs_225_tpt_75_halfLds_dp_op_CI_CI_unitstride_sbrr_R2C_dirReg
		.amdhsa_group_segment_fixed_size 0
		.amdhsa_private_segment_fixed_size 0
		.amdhsa_kernarg_size 104
		.amdhsa_user_sgpr_count 15
		.amdhsa_user_sgpr_dispatch_ptr 0
		.amdhsa_user_sgpr_queue_ptr 0
		.amdhsa_user_sgpr_kernarg_segment_ptr 1
		.amdhsa_user_sgpr_dispatch_id 0
		.amdhsa_user_sgpr_private_segment_size 0
		.amdhsa_wavefront_size32 1
		.amdhsa_uses_dynamic_stack 0
		.amdhsa_enable_private_segment 0
		.amdhsa_system_sgpr_workgroup_id_x 1
		.amdhsa_system_sgpr_workgroup_id_y 0
		.amdhsa_system_sgpr_workgroup_id_z 0
		.amdhsa_system_sgpr_workgroup_info 0
		.amdhsa_system_vgpr_workitem_id 0
		.amdhsa_next_free_vgpr 230
		.amdhsa_next_free_sgpr 27
		.amdhsa_reserve_vcc 1
		.amdhsa_float_round_mode_32 0
		.amdhsa_float_round_mode_16_64 0
		.amdhsa_float_denorm_mode_32 3
		.amdhsa_float_denorm_mode_16_64 3
		.amdhsa_dx10_clamp 1
		.amdhsa_ieee_mode 1
		.amdhsa_fp16_overflow 0
		.amdhsa_workgroup_processor_mode 1
		.amdhsa_memory_ordered 1
		.amdhsa_forward_progress 0
		.amdhsa_shared_vgpr_count 0
		.amdhsa_exception_fp_ieee_invalid_op 0
		.amdhsa_exception_fp_denorm_src 0
		.amdhsa_exception_fp_ieee_div_zero 0
		.amdhsa_exception_fp_ieee_overflow 0
		.amdhsa_exception_fp_ieee_underflow 0
		.amdhsa_exception_fp_ieee_inexact 0
		.amdhsa_exception_int_div_zero 0
	.end_amdhsa_kernel
	.text
.Lfunc_end0:
	.size	fft_rtc_fwd_len1200_factors_5_5_16_3_wgs_225_tpt_75_halfLds_dp_op_CI_CI_unitstride_sbrr_R2C_dirReg, .Lfunc_end0-fft_rtc_fwd_len1200_factors_5_5_16_3_wgs_225_tpt_75_halfLds_dp_op_CI_CI_unitstride_sbrr_R2C_dirReg
                                        ; -- End function
	.section	.AMDGPU.csdata,"",@progbits
; Kernel info:
; codeLenInByte = 15212
; NumSgprs: 29
; NumVgprs: 230
; ScratchSize: 0
; MemoryBound: 0
; FloatMode: 240
; IeeeMode: 1
; LDSByteSize: 0 bytes/workgroup (compile time only)
; SGPRBlocks: 3
; VGPRBlocks: 28
; NumSGPRsForWavesPerEU: 29
; NumVGPRsForWavesPerEU: 230
; Occupancy: 6
; WaveLimiterHint : 1
; COMPUTE_PGM_RSRC2:SCRATCH_EN: 0
; COMPUTE_PGM_RSRC2:USER_SGPR: 15
; COMPUTE_PGM_RSRC2:TRAP_HANDLER: 0
; COMPUTE_PGM_RSRC2:TGID_X_EN: 1
; COMPUTE_PGM_RSRC2:TGID_Y_EN: 0
; COMPUTE_PGM_RSRC2:TGID_Z_EN: 0
; COMPUTE_PGM_RSRC2:TIDIG_COMP_CNT: 0
	.text
	.p2alignl 7, 3214868480
	.fill 96, 4, 3214868480
	.type	__hip_cuid_aa17e4a8f3509f9c,@object ; @__hip_cuid_aa17e4a8f3509f9c
	.section	.bss,"aw",@nobits
	.globl	__hip_cuid_aa17e4a8f3509f9c
__hip_cuid_aa17e4a8f3509f9c:
	.byte	0                               ; 0x0
	.size	__hip_cuid_aa17e4a8f3509f9c, 1

	.ident	"AMD clang version 19.0.0git (https://github.com/RadeonOpenCompute/llvm-project roc-6.4.0 25133 c7fe45cf4b819c5991fe208aaa96edf142730f1d)"
	.section	".note.GNU-stack","",@progbits
	.addrsig
	.addrsig_sym __hip_cuid_aa17e4a8f3509f9c
	.amdgpu_metadata
---
amdhsa.kernels:
  - .args:
      - .actual_access:  read_only
        .address_space:  global
        .offset:         0
        .size:           8
        .value_kind:     global_buffer
      - .offset:         8
        .size:           8
        .value_kind:     by_value
      - .actual_access:  read_only
        .address_space:  global
        .offset:         16
        .size:           8
        .value_kind:     global_buffer
      - .actual_access:  read_only
        .address_space:  global
        .offset:         24
        .size:           8
        .value_kind:     global_buffer
      - .actual_access:  read_only
        .address_space:  global
        .offset:         32
        .size:           8
        .value_kind:     global_buffer
      - .offset:         40
        .size:           8
        .value_kind:     by_value
      - .actual_access:  read_only
        .address_space:  global
        .offset:         48
        .size:           8
        .value_kind:     global_buffer
      - .actual_access:  read_only
        .address_space:  global
        .offset:         56
        .size:           8
        .value_kind:     global_buffer
      - .offset:         64
        .size:           4
        .value_kind:     by_value
      - .actual_access:  read_only
        .address_space:  global
        .offset:         72
        .size:           8
        .value_kind:     global_buffer
      - .actual_access:  read_only
        .address_space:  global
        .offset:         80
        .size:           8
        .value_kind:     global_buffer
      - .actual_access:  read_only
        .address_space:  global
        .offset:         88
        .size:           8
        .value_kind:     global_buffer
      - .actual_access:  write_only
        .address_space:  global
        .offset:         96
        .size:           8
        .value_kind:     global_buffer
    .group_segment_fixed_size: 0
    .kernarg_segment_align: 8
    .kernarg_segment_size: 104
    .language:       OpenCL C
    .language_version:
      - 2
      - 0
    .max_flat_workgroup_size: 225
    .name:           fft_rtc_fwd_len1200_factors_5_5_16_3_wgs_225_tpt_75_halfLds_dp_op_CI_CI_unitstride_sbrr_R2C_dirReg
    .private_segment_fixed_size: 0
    .sgpr_count:     29
    .sgpr_spill_count: 0
    .symbol:         fft_rtc_fwd_len1200_factors_5_5_16_3_wgs_225_tpt_75_halfLds_dp_op_CI_CI_unitstride_sbrr_R2C_dirReg.kd
    .uniform_work_group_size: 1
    .uses_dynamic_stack: false
    .vgpr_count:     230
    .vgpr_spill_count: 0
    .wavefront_size: 32
    .workgroup_processor_mode: 1
amdhsa.target:   amdgcn-amd-amdhsa--gfx1100
amdhsa.version:
  - 1
  - 2
...

	.end_amdgpu_metadata
